;; amdgpu-corpus repo=ROCm/rocFFT kind=compiled arch=gfx950 opt=O3
	.text
	.amdgcn_target "amdgcn-amd-amdhsa--gfx950"
	.amdhsa_code_object_version 6
	.protected	fft_rtc_back_len1176_factors_2_2_2_3_7_7_wgs_56_tpt_56_halfLds_dp_op_CI_CI_unitstride_sbrr_R2C_dirReg ; -- Begin function fft_rtc_back_len1176_factors_2_2_2_3_7_7_wgs_56_tpt_56_halfLds_dp_op_CI_CI_unitstride_sbrr_R2C_dirReg
	.globl	fft_rtc_back_len1176_factors_2_2_2_3_7_7_wgs_56_tpt_56_halfLds_dp_op_CI_CI_unitstride_sbrr_R2C_dirReg
	.p2align	8
	.type	fft_rtc_back_len1176_factors_2_2_2_3_7_7_wgs_56_tpt_56_halfLds_dp_op_CI_CI_unitstride_sbrr_R2C_dirReg,@function
fft_rtc_back_len1176_factors_2_2_2_3_7_7_wgs_56_tpt_56_halfLds_dp_op_CI_CI_unitstride_sbrr_R2C_dirReg: ; @fft_rtc_back_len1176_factors_2_2_2_3_7_7_wgs_56_tpt_56_halfLds_dp_op_CI_CI_unitstride_sbrr_R2C_dirReg
; %bb.0:
	s_load_dwordx4 s[4:7], s[0:1], 0x58
	s_load_dwordx4 s[8:11], s[0:1], 0x0
	;; [unrolled: 1-line block ×3, first 2 shown]
	v_mul_u32_u24_e32 v1, 0x493, v0
	v_add_u32_sdwa v6, s2, v1 dst_sel:DWORD dst_unused:UNUSED_PAD src0_sel:DWORD src1_sel:WORD_1
	v_mov_b32_e32 v4, 0
	s_waitcnt lgkmcnt(0)
	v_cmp_lt_u64_e64 s[2:3], s[10:11], 2
	v_mov_b32_e32 v7, v4
	s_and_b64 vcc, exec, s[2:3]
	v_mov_b64_e32 v[2:3], 0
	s_cbranch_vccnz .LBB0_8
; %bb.1:
	s_load_dwordx2 s[2:3], s[0:1], 0x10
	s_add_u32 s16, s14, 8
	s_addc_u32 s17, s15, 0
	s_add_u32 s18, s12, 8
	s_addc_u32 s19, s13, 0
	s_waitcnt lgkmcnt(0)
	s_add_u32 s20, s2, 8
	v_mov_b64_e32 v[2:3], 0
	s_addc_u32 s21, s3, 0
	s_mov_b64 s[22:23], 1
	v_mov_b64_e32 v[100:101], v[2:3]
.LBB0_2:                                ; =>This Inner Loop Header: Depth=1
	s_load_dwordx2 s[24:25], s[20:21], 0x0
                                        ; implicit-def: $vgpr104_vgpr105
	s_waitcnt lgkmcnt(0)
	v_or_b32_e32 v5, s25, v7
	v_cmp_ne_u64_e32 vcc, 0, v[4:5]
	s_and_saveexec_b64 s[2:3], vcc
	s_xor_b64 s[26:27], exec, s[2:3]
	s_cbranch_execz .LBB0_4
; %bb.3:                                ;   in Loop: Header=BB0_2 Depth=1
	v_cvt_f32_u32_e32 v1, s24
	v_cvt_f32_u32_e32 v5, s25
	s_sub_u32 s2, 0, s24
	s_subb_u32 s3, 0, s25
	v_fmac_f32_e32 v1, 0x4f800000, v5
	v_rcp_f32_e32 v1, v1
	s_nop 0
	v_mul_f32_e32 v1, 0x5f7ffffc, v1
	v_mul_f32_e32 v5, 0x2f800000, v1
	v_trunc_f32_e32 v5, v5
	v_fmac_f32_e32 v1, 0xcf800000, v5
	v_cvt_u32_f32_e32 v5, v5
	v_cvt_u32_f32_e32 v1, v1
	v_mul_lo_u32 v8, s2, v5
	v_mul_hi_u32 v10, s2, v1
	v_mul_lo_u32 v9, s3, v1
	v_add_u32_e32 v10, v10, v8
	v_mul_lo_u32 v12, s2, v1
	v_add_u32_e32 v13, v10, v9
	v_mul_hi_u32 v8, v1, v12
	v_mul_hi_u32 v11, v1, v13
	v_mul_lo_u32 v10, v1, v13
	v_mov_b32_e32 v9, v4
	v_lshl_add_u64 v[8:9], v[8:9], 0, v[10:11]
	v_mul_hi_u32 v11, v5, v12
	v_mul_lo_u32 v12, v5, v12
	v_add_co_u32_e32 v8, vcc, v8, v12
	v_mul_hi_u32 v10, v5, v13
	s_nop 0
	v_addc_co_u32_e32 v8, vcc, v9, v11, vcc
	v_mov_b32_e32 v9, v4
	s_nop 0
	v_addc_co_u32_e32 v11, vcc, 0, v10, vcc
	v_mul_lo_u32 v10, v5, v13
	v_lshl_add_u64 v[8:9], v[8:9], 0, v[10:11]
	v_add_co_u32_e32 v1, vcc, v1, v8
	v_mul_lo_u32 v10, s2, v1
	s_nop 0
	v_addc_co_u32_e32 v5, vcc, v5, v9, vcc
	v_mul_lo_u32 v8, s2, v5
	v_mul_hi_u32 v9, s2, v1
	v_add_u32_e32 v8, v9, v8
	v_mul_lo_u32 v9, s3, v1
	v_add_u32_e32 v12, v8, v9
	v_mul_hi_u32 v14, v5, v10
	v_mul_lo_u32 v15, v5, v10
	v_mul_hi_u32 v9, v1, v12
	v_mul_lo_u32 v8, v1, v12
	v_mul_hi_u32 v10, v1, v10
	v_mov_b32_e32 v11, v4
	v_lshl_add_u64 v[8:9], v[10:11], 0, v[8:9]
	v_add_co_u32_e32 v8, vcc, v8, v15
	v_mul_hi_u32 v13, v5, v12
	s_nop 0
	v_addc_co_u32_e32 v8, vcc, v9, v14, vcc
	v_mul_lo_u32 v10, v5, v12
	s_nop 0
	v_addc_co_u32_e32 v11, vcc, 0, v13, vcc
	v_mov_b32_e32 v9, v4
	v_lshl_add_u64 v[8:9], v[8:9], 0, v[10:11]
	v_add_co_u32_e32 v1, vcc, v1, v8
	v_mul_hi_u32 v10, v6, v1
	s_nop 0
	v_addc_co_u32_e32 v5, vcc, v5, v9, vcc
	v_mad_u64_u32 v[8:9], s[2:3], v6, v5, 0
	v_mov_b32_e32 v11, v4
	v_lshl_add_u64 v[8:9], v[10:11], 0, v[8:9]
	v_mad_u64_u32 v[12:13], s[2:3], v7, v1, 0
	v_add_co_u32_e32 v1, vcc, v8, v12
	v_mad_u64_u32 v[10:11], s[2:3], v7, v5, 0
	s_nop 0
	v_addc_co_u32_e32 v8, vcc, v9, v13, vcc
	v_mov_b32_e32 v9, v4
	s_nop 0
	v_addc_co_u32_e32 v11, vcc, 0, v11, vcc
	v_lshl_add_u64 v[8:9], v[8:9], 0, v[10:11]
	v_mul_lo_u32 v1, s25, v8
	v_mul_lo_u32 v5, s24, v9
	v_mad_u64_u32 v[10:11], s[2:3], s24, v8, 0
	v_add3_u32 v1, v11, v5, v1
	v_sub_u32_e32 v5, v7, v1
	v_mov_b32_e32 v11, s25
	v_sub_co_u32_e32 v14, vcc, v6, v10
	v_lshl_add_u64 v[12:13], v[8:9], 0, 1
	s_nop 0
	v_subb_co_u32_e64 v5, s[2:3], v5, v11, vcc
	v_subrev_co_u32_e64 v10, s[2:3], s24, v14
	v_subb_co_u32_e32 v1, vcc, v7, v1, vcc
	s_nop 0
	v_subbrev_co_u32_e64 v5, s[2:3], 0, v5, s[2:3]
	v_cmp_le_u32_e64 s[2:3], s25, v5
	v_cmp_le_u32_e32 vcc, s25, v1
	s_nop 0
	v_cndmask_b32_e64 v11, 0, -1, s[2:3]
	v_cmp_le_u32_e64 s[2:3], s24, v10
	s_nop 1
	v_cndmask_b32_e64 v10, 0, -1, s[2:3]
	v_cmp_eq_u32_e64 s[2:3], s25, v5
	s_nop 1
	v_cndmask_b32_e64 v5, v11, v10, s[2:3]
	v_lshl_add_u64 v[10:11], v[8:9], 0, 2
	v_cmp_ne_u32_e64 s[2:3], 0, v5
	s_nop 1
	v_cndmask_b32_e64 v5, v13, v11, s[2:3]
	v_cndmask_b32_e64 v11, 0, -1, vcc
	v_cmp_le_u32_e32 vcc, s24, v14
	s_nop 1
	v_cndmask_b32_e64 v13, 0, -1, vcc
	v_cmp_eq_u32_e32 vcc, s25, v1
	s_nop 1
	v_cndmask_b32_e32 v1, v11, v13, vcc
	v_cmp_ne_u32_e32 vcc, 0, v1
	v_cndmask_b32_e64 v1, v12, v10, s[2:3]
	s_nop 0
	v_cndmask_b32_e32 v105, v9, v5, vcc
	v_cndmask_b32_e32 v104, v8, v1, vcc
.LBB0_4:                                ;   in Loop: Header=BB0_2 Depth=1
	s_andn2_saveexec_b64 s[2:3], s[26:27]
	s_cbranch_execz .LBB0_6
; %bb.5:                                ;   in Loop: Header=BB0_2 Depth=1
	v_cvt_f32_u32_e32 v1, s24
	s_sub_i32 s26, 0, s24
	v_mov_b32_e32 v105, v4
	v_rcp_iflag_f32_e32 v1, v1
	s_nop 0
	v_mul_f32_e32 v1, 0x4f7ffffe, v1
	v_cvt_u32_f32_e32 v1, v1
	v_mul_lo_u32 v5, s26, v1
	v_mul_hi_u32 v5, v1, v5
	v_add_u32_e32 v1, v1, v5
	v_mul_hi_u32 v1, v6, v1
	v_mul_lo_u32 v5, v1, s24
	v_sub_u32_e32 v5, v6, v5
	v_add_u32_e32 v8, 1, v1
	v_subrev_u32_e32 v9, s24, v5
	v_cmp_le_u32_e32 vcc, s24, v5
	s_nop 1
	v_cndmask_b32_e32 v5, v5, v9, vcc
	v_cndmask_b32_e32 v1, v1, v8, vcc
	v_add_u32_e32 v8, 1, v1
	v_cmp_le_u32_e32 vcc, s24, v5
	s_nop 1
	v_cndmask_b32_e32 v104, v1, v8, vcc
.LBB0_6:                                ;   in Loop: Header=BB0_2 Depth=1
	s_or_b64 exec, exec, s[2:3]
	v_mad_u64_u32 v[8:9], s[2:3], v104, s24, 0
	s_load_dwordx2 s[2:3], s[18:19], 0x0
	v_mul_lo_u32 v1, v105, s24
	v_mul_lo_u32 v5, v104, s25
	s_load_dwordx2 s[24:25], s[16:17], 0x0
	s_add_u32 s22, s22, 1
	v_add3_u32 v1, v9, v5, v1
	v_sub_co_u32_e32 v5, vcc, v6, v8
	s_addc_u32 s23, s23, 0
	s_nop 0
	v_subb_co_u32_e32 v1, vcc, v7, v1, vcc
	s_add_u32 s16, s16, 8
	s_waitcnt lgkmcnt(0)
	v_mul_lo_u32 v6, s2, v1
	v_mul_lo_u32 v7, s3, v5
	v_mad_u64_u32 v[2:3], s[2:3], s2, v5, v[2:3]
	s_addc_u32 s17, s17, 0
	v_add3_u32 v3, v7, v3, v6
	v_mul_lo_u32 v1, s24, v1
	v_mul_lo_u32 v6, s25, v5
	v_mad_u64_u32 v[100:101], s[2:3], s24, v5, v[100:101]
	s_add_u32 s18, s18, 8
	v_add3_u32 v101, v6, v101, v1
	s_addc_u32 s19, s19, 0
	v_mov_b64_e32 v[6:7], s[10:11]
	s_add_u32 s20, s20, 8
	v_cmp_ge_u64_e32 vcc, s[22:23], v[6:7]
	s_addc_u32 s21, s21, 0
	s_cbranch_vccnz .LBB0_9
; %bb.7:                                ;   in Loop: Header=BB0_2 Depth=1
	v_mov_b64_e32 v[6:7], v[104:105]
	s_branch .LBB0_2
.LBB0_8:
	v_mov_b64_e32 v[100:101], v[2:3]
	v_mov_b64_e32 v[104:105], v[6:7]
.LBB0_9:
	s_load_dwordx2 s[18:19], s[0:1], 0x28
	s_lshl_b64 s[16:17], s[10:11], 3
	s_add_u32 s2, s14, s16
	s_addc_u32 s3, s15, s17
                                        ; implicit-def: $vgpr102
                                        ; implicit-def: $vgpr106
                                        ; implicit-def: $vgpr124
                                        ; implicit-def: $vgpr122
                                        ; implicit-def: $vgpr120
                                        ; implicit-def: $vgpr118
                                        ; implicit-def: $vgpr116
                                        ; implicit-def: $vgpr114
                                        ; implicit-def: $vgpr110
                                        ; implicit-def: $vgpr112
                                        ; implicit-def: $vgpr108
	s_waitcnt lgkmcnt(0)
	v_cmp_gt_u64_e64 s[0:1], s[18:19], v[104:105]
	v_cmp_le_u64_e32 vcc, s[18:19], v[104:105]
	s_and_saveexec_b64 s[10:11], vcc
	s_xor_b64 s[10:11], exec, s[10:11]
	s_cbranch_execz .LBB0_11
; %bb.10:
	s_mov_b32 s14, 0x4924925
	v_mul_hi_u32 v1, v0, s14
	v_mul_u32_u24_e32 v1, 56, v1
	v_sub_u32_e32 v102, v0, v1
	v_add_u32_e32 v106, 56, v102
	v_add_u32_e32 v124, 0x70, v102
	;; [unrolled: 1-line block ×7, first 2 shown]
	v_or_b32_e32 v110, 0x1c0, v102
	v_add_u32_e32 v112, 0x1f8, v102
	v_add_u32_e32 v108, 0x230, v102
                                        ; implicit-def: $vgpr0
                                        ; implicit-def: $vgpr2_vgpr3
.LBB0_11:
	s_andn2_saveexec_b64 s[10:11], s[10:11]
	s_cbranch_execz .LBB0_13
; %bb.12:
	s_add_u32 s12, s12, s16
	s_addc_u32 s13, s13, s17
	s_load_dwordx2 s[12:13], s[12:13], 0x0
	s_mov_b32 s14, 0x4924925
	v_mov_b32_e32 v27, 0
	v_mov_b32_e32 v17, v27
	s_waitcnt lgkmcnt(0)
	v_mul_lo_u32 v1, s13, v104
	v_mul_lo_u32 v6, s12, v105
	v_mad_u64_u32 v[4:5], s[12:13], s12, v104, 0
	v_add3_u32 v5, v5, v6, v1
	v_mul_hi_u32 v1, v0, s14
	v_mul_u32_u24_e32 v1, 56, v1
	v_sub_u32_e32 v102, v0, v1
	v_lshl_add_u64 v[0:1], v[4:5], 4, s[4:5]
	v_lshl_add_u64 v[24:25], v[2:3], 4, v[0:1]
	v_lshlrev_b32_e32 v26, 4, v102
	v_lshl_add_u64 v[76:77], v[24:25], 0, v[26:27]
	s_movk_i32 s4, 0x1000
	v_add_co_u32_e32 v80, vcc, s4, v76
	s_movk_i32 s4, 0x2000
	s_nop 0
	v_addc_co_u32_e32 v81, vcc, 0, v77, vcc
	v_add_co_u32_e32 v82, vcc, s4, v76
	s_movk_i32 s5, 0x3000
	s_nop 0
	v_addc_co_u32_e32 v83, vcc, 0, v77, vcc
	v_add_co_u32_e32 v84, vcc, s5, v76
	v_or_b32_e32 v110, 0x1c0, v102
	s_nop 0
	v_addc_co_u32_e32 v85, vcc, 0, v77, vcc
	v_lshlrev_b32_e32 v16, 4, v110
	v_add_co_u32_e32 v88, vcc, 0x4000, v76
	v_lshl_add_u64 v[78:79], v[24:25], 0, v[16:17]
	v_add_u32_e32 v90, 0, v26
	v_or_b32_e32 v26, 0x3800, v26
	v_addc_co_u32_e32 v89, vcc, 0, v77, vcc
	global_load_dwordx4 v[0:3], v[76:77], off
	global_load_dwordx4 v[4:7], v[76:77], off offset:896
	global_load_dwordx4 v[8:11], v[76:77], off offset:1792
	;; [unrolled: 1-line block ×5, first 2 shown]
	v_lshl_add_u64 v[86:87], v[24:25], 0, v[26:27]
	global_load_dwordx4 v[24:27], v[80:81], off offset:1280
	global_load_dwordx4 v[28:31], v[80:81], off offset:2176
	global_load_dwordx4 v[32:35], v[78:79], off
	global_load_dwordx4 v[36:39], v[80:81], off offset:3968
	global_load_dwordx4 v[40:43], v[82:83], off offset:768
	global_load_dwordx4 v[44:47], v[82:83], off offset:1664
	global_load_dwordx4 v[48:51], v[82:83], off offset:2560
	global_load_dwordx4 v[52:55], v[82:83], off offset:3456
	global_load_dwordx4 v[56:59], v[84:85], off offset:256
	global_load_dwordx4 v[60:63], v[84:85], off offset:1152
	global_load_dwordx4 v[64:67], v[86:87], off
	global_load_dwordx4 v[68:71], v[84:85], off offset:2944
	global_load_dwordx4 v[72:75], v[84:85], off offset:3840
	;; [unrolled: 1-line block ×4, first 2 shown]
	v_add_u32_e32 v106, 56, v102
	v_add_u32_e32 v124, 0x70, v102
	;; [unrolled: 1-line block ×9, first 2 shown]
	s_waitcnt vmcnt(20)
	ds_write_b128 v90, v[0:3]
	s_waitcnt vmcnt(19)
	ds_write_b128 v90, v[4:7] offset:896
	s_waitcnt vmcnt(18)
	ds_write_b128 v90, v[8:11] offset:1792
	;; [unrolled: 2-line block ×5, first 2 shown]
	ds_write_b128 v90, v[20:23] offset:4480
	ds_write_b128 v90, v[24:27] offset:5376
	;; [unrolled: 1-line block ×3, first 2 shown]
	s_waitcnt vmcnt(11)
	ds_write_b128 v90, v[36:39] offset:8064
	s_waitcnt vmcnt(10)
	ds_write_b128 v90, v[40:43] offset:8960
	;; [unrolled: 2-line block ×12, first 2 shown]
.LBB0_13:
	s_or_b64 exec, exec, s[10:11]
	v_lshlrev_b32_e32 v103, 4, v102
	v_add_u32_e32 v109, 0, v103
	s_load_dwordx2 s[4:5], s[2:3], 0x0
	s_waitcnt lgkmcnt(0)
	; wave barrier
	s_waitcnt lgkmcnt(0)
	ds_read_b128 v[20:23], v109 offset:9408
	ds_read_b128 v[24:27], v109
	ds_read_b128 v[0:3], v109 offset:896
	ds_read_b128 v[8:11], v109 offset:10304
	;; [unrolled: 1-line block ×6, first 2 shown]
	s_waitcnt lgkmcnt(6)
	v_add_f64 v[20:21], v[24:25], -v[20:21]
	v_add_f64 v[22:23], v[26:27], -v[22:23]
	v_fma_f64 v[24:25], v[24:25], 2.0, -v[20:21]
	v_fma_f64 v[26:27], v[26:27], 2.0, -v[22:23]
	v_add_u32_e32 v88, v109, v103
	s_waitcnt lgkmcnt(4)
	v_add_f64 v[8:9], v[0:1], -v[8:9]
	v_add_f64 v[10:11], v[2:3], -v[10:11]
	ds_read_b128 v[32:35], v109 offset:12096
	ds_read_b128 v[36:39], v109 offset:12992
	;; [unrolled: 1-line block ×14, first 2 shown]
	s_waitcnt lgkmcnt(0)
	; wave barrier
	s_waitcnt lgkmcnt(0)
	ds_write_b128 v88, v[24:27]
	ds_write_b128 v88, v[20:23] offset:16
	v_fma_f64 v[0:1], v[0:1], 2.0, -v[8:9]
	v_fma_f64 v[2:3], v[2:3], 2.0, -v[10:11]
	v_lshl_add_u32 v20, v106, 5, 0
	ds_write_b128 v20, v[0:3]
	ds_write_b128 v20, v[8:11] offset:16
	v_add_f64 v[0:1], v[12:13], -v[16:17]
	v_add_f64 v[2:3], v[14:15], -v[18:19]
	v_fma_f64 v[8:9], v[12:13], 2.0, -v[0:1]
	v_fma_f64 v[10:11], v[14:15], 2.0, -v[2:3]
	v_lshl_add_u32 v12, v124, 5, 0
	ds_write_b128 v12, v[8:11]
	ds_write_b128 v12, v[0:3] offset:16
	v_add_f64 v[0:1], v[4:5], -v[32:33]
	v_add_f64 v[2:3], v[6:7], -v[34:35]
	;; [unrolled: 7-line block ×4, first 2 shown]
	v_fma_f64 v[8:9], v[44:45], 2.0, -v[4:5]
	v_fma_f64 v[10:11], v[46:47], 2.0, -v[6:7]
	v_add_f64 v[16:17], v[56:57], -v[52:53]
	v_add_f64 v[18:19], v[58:59], -v[54:55]
	;; [unrolled: 1-line block ×10, first 2 shown]
	v_fma_f64 v[20:21], v[56:57], 2.0, -v[16:17]
	v_fma_f64 v[22:23], v[58:59], 2.0, -v[18:19]
	;; [unrolled: 1-line block ×10, first 2 shown]
	v_lshl_add_u32 v88, v118, 5, 0
	v_lshl_add_u32 v89, v116, 5, 0
	;; [unrolled: 1-line block ×5, first 2 shown]
	v_cmp_gt_u32_e32 vcc, 28, v102
	ds_write_b128 v88, v[8:11]
	ds_write_b128 v88, v[4:7] offset:16
	ds_write_b128 v89, v[20:23]
	ds_write_b128 v89, v[16:19] offset:16
	;; [unrolled: 2-line block ×5, first 2 shown]
	s_and_saveexec_b64 s[2:3], vcc
	s_cbranch_execz .LBB0_15
; %bb.14:
	v_lshl_add_u32 v4, v108, 5, 0
	ds_write_b128 v4, v[0:3]
	ds_write_b128 v4, v[12:15] offset:16
.LBB0_15:
	s_or_b64 exec, exec, s[2:3]
	v_lshlrev_b32_e32 v93, 4, v118
	v_lshl_add_u32 v115, v124, 4, 0
	v_lshl_add_u32 v111, v120, 4, 0
	v_sub_u32_e32 v4, v88, v93
	v_lshlrev_b32_e32 v94, 4, v116
	v_lshlrev_b32_e32 v95, 4, v114
	s_waitcnt lgkmcnt(0)
	; wave barrier
	s_waitcnt lgkmcnt(0)
	ds_read_b128 v[40:43], v109
	ds_read_b128 v[84:87], v109 offset:9408
	ds_read_b128 v[80:83], v109 offset:10304
	;; [unrolled: 1-line block ×3, first 2 shown]
	v_lshl_add_u32 v113, v122, 4, 0
	ds_read_b128 v[36:39], v115
	ds_read_b128 v[32:35], v113
	ds_read_b128 v[72:75], v109 offset:12096
	ds_read_b128 v[64:67], v109 offset:12992
	ds_read_b128 v[28:31], v111
	ds_read_b128 v[24:27], v4
	v_sub_u32_e32 v4, v89, v94
	v_sub_u32_e32 v5, v90, v95
	v_lshlrev_b32_e32 v98, 4, v110
	v_lshlrev_b32_e32 v99, 4, v112
	ds_read_b128 v[68:71], v109 offset:13888
	ds_read_b128 v[52:55], v109 offset:14784
	ds_read_b128 v[20:23], v4
	ds_read_b128 v[16:19], v5
	v_sub_u32_e32 v4, v91, v98
	v_sub_u32_e32 v5, v92, v99
	v_lshl_add_u32 v117, v106, 4, 0
	ds_read_b128 v[56:59], v109 offset:15680
	ds_read_b128 v[48:51], v109 offset:16576
	ds_read_b128 v[8:11], v4
	ds_read_b128 v[4:7], v5
	;; [unrolled: 1-line block ×3, first 2 shown]
	ds_read_b128 v[60:63], v109 offset:17472
	v_lshlrev_b32_e32 v135, 1, v106
	v_lshlrev_b32_e32 v134, 1, v124
	;; [unrolled: 1-line block ×9, first 2 shown]
	v_lshl_add_u32 v126, v108, 4, 0
	s_and_saveexec_b64 s[2:3], vcc
	s_cbranch_execz .LBB0_17
; %bb.16:
	ds_read_b128 v[0:3], v126
	ds_read_b128 v[12:15], v109 offset:18368
.LBB0_17:
	s_or_b64 exec, exec, s[2:3]
	v_sub_u32_e32 v96, 0, v94
	v_sub_u32_e32 v94, 0, v98
	v_and_b32_e32 v98, 1, v102
	v_sub_u32_e32 v97, 0, v93
	v_sub_u32_e32 v93, 0, v99
	v_lshlrev_b32_e32 v99, 4, v98
	global_load_dwordx4 v[128:131], v99, s[8:9]
	v_lshlrev_b32_e32 v136, 1, v102
	s_movk_i32 s2, 0x7c
	v_and_or_b32 v99, v136, s2, v98
	v_lshl_add_u32 v99, v99, 4, 0
	s_movk_i32 s2, 0xfc
	s_waitcnt lgkmcnt(0)
	; wave barrier
	s_waitcnt lgkmcnt(0)
	s_movk_i32 s3, 0x2fc
	v_sub_u32_e32 v95, 0, v95
	v_lshlrev_b32_e32 v137, 1, v108
	s_waitcnt vmcnt(0)
	v_mul_f64 v[138:139], v[86:87], v[130:131]
	v_fmac_f64_e32 v[138:139], v[84:85], v[128:129]
	v_mul_f64 v[84:85], v[84:85], v[130:131]
	v_fma_f64 v[84:85], v[86:87], v[128:129], -v[84:85]
	v_mul_f64 v[86:87], v[82:83], v[130:131]
	v_fmac_f64_e32 v[86:87], v[80:81], v[128:129]
	v_mul_f64 v[80:81], v[80:81], v[130:131]
	v_fma_f64 v[80:81], v[82:83], v[128:129], -v[80:81]
	v_mul_f64 v[82:83], v[78:79], v[130:131]
	v_fmac_f64_e32 v[82:83], v[76:77], v[128:129]
	v_mul_f64 v[76:77], v[76:77], v[130:131]
	v_fma_f64 v[76:77], v[78:79], v[128:129], -v[76:77]
	v_mul_f64 v[78:79], v[74:75], v[130:131]
	v_fmac_f64_e32 v[78:79], v[72:73], v[128:129]
	v_mul_f64 v[72:73], v[72:73], v[130:131]
	v_fma_f64 v[72:73], v[74:75], v[128:129], -v[72:73]
	v_mul_f64 v[74:75], v[66:67], v[130:131]
	v_fmac_f64_e32 v[74:75], v[64:65], v[128:129]
	v_mul_f64 v[64:65], v[64:65], v[130:131]
	v_fma_f64 v[64:65], v[66:67], v[128:129], -v[64:65]
	v_mul_f64 v[66:67], v[70:71], v[130:131]
	v_fmac_f64_e32 v[66:67], v[68:69], v[128:129]
	v_mul_f64 v[68:69], v[68:69], v[130:131]
	v_fma_f64 v[68:69], v[70:71], v[128:129], -v[68:69]
	v_mul_f64 v[70:71], v[54:55], v[130:131]
	v_mul_f64 v[146:147], v[50:51], v[130:131]
	v_fmac_f64_e32 v[70:71], v[52:53], v[128:129]
	v_mul_f64 v[52:53], v[52:53], v[130:131]
	v_fmac_f64_e32 v[146:147], v[48:49], v[128:129]
	v_mul_f64 v[48:49], v[48:49], v[130:131]
	v_mul_f64 v[154:155], v[14:15], v[130:131]
	v_fma_f64 v[140:141], v[54:55], v[128:129], -v[52:53]
	v_mul_f64 v[142:143], v[58:59], v[130:131]
	v_mul_f64 v[52:53], v[56:57], v[130:131]
	v_fma_f64 v[148:149], v[50:51], v[128:129], -v[48:49]
	v_mul_f64 v[150:151], v[62:63], v[130:131]
	v_mul_f64 v[48:49], v[60:61], v[130:131]
	v_fmac_f64_e32 v[154:155], v[12:13], v[128:129]
	v_mul_f64 v[12:13], v[12:13], v[130:131]
	v_fmac_f64_e32 v[142:143], v[56:57], v[128:129]
	v_fma_f64 v[144:145], v[58:59], v[128:129], -v[52:53]
	v_fmac_f64_e32 v[150:151], v[60:61], v[128:129]
	v_fma_f64 v[152:153], v[62:63], v[128:129], -v[48:49]
	v_fma_f64 v[128:129], v[14:15], v[128:129], -v[12:13]
	v_add_f64 v[12:13], v[40:41], -v[138:139]
	v_add_f64 v[14:15], v[42:43], -v[84:85]
	v_fma_f64 v[40:41], v[40:41], 2.0, -v[12:13]
	v_fma_f64 v[42:43], v[42:43], 2.0, -v[14:15]
	v_add_f64 v[48:49], v[44:45], -v[86:87]
	v_add_f64 v[50:51], v[46:47], -v[80:81]
	ds_write_b128 v99, v[40:43]
	ds_write_b128 v99, v[12:15] offset:32
	v_and_or_b32 v12, v135, s2, v98
	v_fma_f64 v[44:45], v[44:45], 2.0, -v[48:49]
	v_fma_f64 v[46:47], v[46:47], 2.0, -v[50:51]
	v_lshl_add_u32 v12, v12, 4, 0
	s_movk_i32 s2, 0x1fc
	v_add_f64 v[52:53], v[36:37], -v[82:83]
	v_add_f64 v[54:55], v[38:39], -v[76:77]
	ds_write_b128 v12, v[44:47]
	ds_write_b128 v12, v[48:51] offset:32
	v_and_or_b32 v12, v134, s2, v98
	v_fma_f64 v[36:37], v[36:37], 2.0, -v[52:53]
	v_fma_f64 v[38:39], v[38:39], 2.0, -v[54:55]
	v_lshl_add_u32 v12, v12, 4, 0
	v_add_f64 v[56:57], v[32:33], -v[78:79]
	v_add_f64 v[58:59], v[34:35], -v[72:73]
	ds_write_b128 v12, v[36:39]
	ds_write_b128 v12, v[52:55] offset:32
	v_and_or_b32 v12, v132, s2, v98
	v_fma_f64 v[32:33], v[32:33], 2.0, -v[56:57]
	v_fma_f64 v[34:35], v[34:35], 2.0, -v[58:59]
	v_lshl_add_u32 v12, v12, 4, 0
	s_movk_i32 s2, 0x3fc
	v_add_f64 v[60:61], v[28:29], -v[74:75]
	v_add_f64 v[62:63], v[30:31], -v[64:65]
	ds_write_b128 v12, v[32:35]
	ds_write_b128 v12, v[56:59] offset:32
	v_and_or_b32 v12, v123, s2, v98
	v_fma_f64 v[28:29], v[28:29], 2.0, -v[60:61]
	v_fma_f64 v[30:31], v[30:31], 2.0, -v[62:63]
	v_lshl_add_u32 v12, v12, 4, 0
	v_add_f64 v[64:65], v[24:25], -v[66:67]
	v_add_f64 v[66:67], v[26:27], -v[68:69]
	ds_write_b128 v12, v[28:31]
	ds_write_b128 v12, v[60:63] offset:32
	v_and_or_b32 v12, v119, s3, v98
	v_fma_f64 v[24:25], v[24:25], 2.0, -v[64:65]
	v_fma_f64 v[26:27], v[26:27], 2.0, -v[66:67]
	v_lshl_add_u32 v12, v12, 4, 0
	;; [unrolled: 8-line block ×4, first 2 shown]
	v_add_f64 v[76:77], v[8:9], -v[146:147]
	v_add_f64 v[78:79], v[10:11], -v[148:149]
	ds_write_b128 v12, v[16:19]
	ds_write_b128 v12, v[72:75] offset:32
	v_and_or_b32 v12, v125, s2, v98
	v_fma_f64 v[8:9], v[8:9], 2.0, -v[76:77]
	v_fma_f64 v[10:11], v[10:11], 2.0, -v[78:79]
	v_add_f64 v[80:81], v[4:5], -v[150:151]
	v_add_f64 v[82:83], v[6:7], -v[152:153]
	v_lshl_add_u32 v12, v12, 4, 0
	s_movk_i32 s2, 0x7fc
	v_fma_f64 v[84:85], v[4:5], 2.0, -v[80:81]
	v_fma_f64 v[86:87], v[6:7], 2.0, -v[82:83]
	v_add_f64 v[4:5], v[0:1], -v[154:155]
	v_add_f64 v[6:7], v[2:3], -v[128:129]
	ds_write_b128 v12, v[8:11]
	ds_write_b128 v12, v[76:79] offset:32
	v_and_or_b32 v8, v121, s2, v98
	v_fma_f64 v[0:1], v[0:1], 2.0, -v[4:5]
	v_fma_f64 v[2:3], v[2:3], 2.0, -v[6:7]
	v_lshl_add_u32 v8, v8, 4, 0
	ds_write_b128 v8, v[84:87]
	ds_write_b128 v8, v[80:83] offset:32
	s_and_saveexec_b64 s[2:3], vcc
	s_cbranch_execz .LBB0_19
; %bb.18:
	s_movk_i32 s10, 0x4fc
	v_and_or_b32 v8, v137, s10, v98
	v_lshl_add_u32 v8, v8, 4, 0
	ds_write_b128 v8, v[0:3]
	ds_write_b128 v8, v[4:7] offset:32
.LBB0_19:
	s_or_b64 exec, exec, s[2:3]
	s_waitcnt lgkmcnt(0)
	; wave barrier
	s_waitcnt lgkmcnt(0)
	ds_read_b128 v[36:39], v109
	ds_read_b128 v[80:83], v109 offset:9408
	ds_read_b128 v[76:79], v109 offset:10304
	;; [unrolled: 1-line block ×3, first 2 shown]
	ds_read_b128 v[32:35], v115
	ds_read_b128 v[20:23], v113
	ds_read_b128 v[60:63], v109 offset:12096
	ds_read_b128 v[44:47], v109 offset:12992
	v_add_u32_e32 v130, v89, v96
	v_add_u32_e32 v128, v91, v94
	;; [unrolled: 1-line block ×3, first 2 shown]
	ds_read_b128 v[24:27], v111
	ds_read_b128 v[12:15], v131
	ds_read_b128 v[64:67], v109 offset:13888
	ds_read_b128 v[48:51], v109 offset:14784
	v_add_u32_e32 v129, v90, v95
	ds_read_b128 v[28:31], v130
	ds_read_b128 v[16:19], v129
	ds_read_b128 v[68:71], v109 offset:15680
	ds_read_b128 v[52:55], v109 offset:16576
	v_add_u32_e32 v127, v92, v93
	ds_read_b128 v[96:99], v128
	ds_read_b128 v[92:95], v127
	;; [unrolled: 1-line block ×3, first 2 shown]
	ds_read_b128 v[56:59], v109 offset:17472
	s_and_saveexec_b64 s[2:3], vcc
	s_cbranch_execz .LBB0_21
; %bb.20:
	ds_read_b128 v[0:3], v126
	ds_read_b128 v[4:7], v109 offset:18368
.LBB0_21:
	s_or_b64 exec, exec, s[2:3]
	v_and_b32_e32 v138, 3, v102
	v_lshlrev_b32_e32 v8, 4, v138
	global_load_dwordx4 v[8:11], v8, s[8:9] offset:32
	s_movk_i32 s2, 0x78
	s_waitcnt lgkmcnt(0)
	; wave barrier
	s_waitcnt lgkmcnt(0)
	s_movk_i32 s3, 0x2f8
	s_waitcnt vmcnt(0)
	v_mul_f64 v[84:85], v[82:83], v[10:11]
	v_mul_f64 v[144:145], v[46:47], v[10:11]
	v_mul_f64 v[148:149], v[50:51], v[10:11]
	v_fmac_f64_e32 v[84:85], v[80:81], v[8:9]
	v_mul_f64 v[80:81], v[80:81], v[10:11]
	v_fmac_f64_e32 v[144:145], v[44:45], v[8:9]
	v_mul_f64 v[44:45], v[44:45], v[10:11]
	;; [unrolled: 2-line block ×3, first 2 shown]
	v_fma_f64 v[80:81], v[82:83], v[8:9], -v[80:81]
	v_mul_f64 v[82:83], v[78:79], v[10:11]
	v_fma_f64 v[44:45], v[46:47], v[8:9], -v[44:45]
	v_mul_f64 v[46:47], v[66:67], v[10:11]
	;; [unrolled: 2-line block ×3, first 2 shown]
	v_fmac_f64_e32 v[82:83], v[76:77], v[8:9]
	v_mul_f64 v[76:77], v[76:77], v[10:11]
	v_mul_f64 v[140:141], v[74:75], v[10:11]
	v_fmac_f64_e32 v[46:47], v[64:65], v[8:9]
	v_mul_f64 v[152:153], v[70:71], v[10:11]
	v_fma_f64 v[154:155], v[70:71], v[8:9], -v[48:49]
	v_mul_f64 v[48:49], v[52:53], v[10:11]
	v_mul_f64 v[160:161], v[58:59], v[10:11]
	v_add_f64 v[84:85], v[36:37], -v[84:85]
	v_fma_f64 v[78:79], v[78:79], v[8:9], -v[76:77]
	v_fmac_f64_e32 v[140:141], v[72:73], v[8:9]
	v_mul_f64 v[72:73], v[72:73], v[10:11]
	v_fmac_f64_e32 v[152:153], v[68:69], v[8:9]
	v_mul_f64 v[156:157], v[54:55], v[10:11]
	v_fma_f64 v[158:159], v[54:55], v[8:9], -v[48:49]
	v_fmac_f64_e32 v[160:161], v[56:57], v[8:9]
	v_mul_f64 v[48:49], v[56:57], v[10:11]
	v_fma_f64 v[88:89], v[36:37], 2.0, -v[84:85]
	v_add_f64 v[76:77], v[40:41], -v[82:83]
	v_add_f64 v[54:55], v[26:27], -v[44:45]
	;; [unrolled: 1-line block ×4, first 2 shown]
	v_fma_f64 v[72:73], v[74:75], v[8:9], -v[72:73]
	v_fma_f64 v[162:163], v[58:59], v[8:9], -v[48:49]
	v_add_f64 v[86:87], v[38:39], -v[80:81]
	v_fma_f64 v[80:81], v[40:41], 2.0, -v[76:77]
	v_add_f64 v[68:69], v[32:33], -v[140:141]
	v_fma_f64 v[48:49], v[12:13], 2.0, -v[44:45]
	v_fma_f64 v[40:41], v[28:29], 2.0, -v[36:37]
	v_add_f64 v[28:29], v[16:17], -v[152:153]
	v_add_f64 v[12:13], v[92:93], -v[160:161]
	;; [unrolled: 1-line block ×3, first 2 shown]
	v_fma_f64 v[72:73], v[32:33], 2.0, -v[68:69]
	v_fma_f64 v[32:33], v[16:17], 2.0, -v[28:29]
	;; [unrolled: 1-line block ×3, first 2 shown]
	v_and_or_b32 v92, v136, s2, v138
	v_fma_f64 v[90:91], v[38:39], 2.0, -v[86:87]
	v_lshl_add_u32 v92, v92, 4, 0
	s_movk_i32 s2, 0xf8
	v_add_f64 v[78:79], v[42:43], -v[78:79]
	ds_write_b128 v92, v[88:91]
	ds_write_b128 v92, v[84:87] offset:64
	v_and_or_b32 v84, v135, s2, v138
	v_mul_f64 v[142:143], v[62:63], v[10:11]
	v_fma_f64 v[82:83], v[42:43], 2.0, -v[78:79]
	v_lshl_add_u32 v84, v84, 4, 0
	s_movk_i32 s2, 0x1f8
	v_fmac_f64_e32 v[142:143], v[60:61], v[8:9]
	v_mul_f64 v[60:61], v[60:61], v[10:11]
	ds_write_b128 v84, v[80:83]
	ds_write_b128 v84, v[76:79] offset:64
	v_and_or_b32 v76, v134, s2, v138
	v_fma_f64 v[62:63], v[62:63], v[8:9], -v[60:61]
	v_mul_f64 v[60:61], v[64:65], v[10:11]
	v_fma_f64 v[74:75], v[34:35], 2.0, -v[70:71]
	v_lshl_add_u32 v76, v76, 4, 0
	v_fma_f64 v[146:147], v[66:67], v[8:9], -v[60:61]
	v_add_f64 v[60:61], v[20:21], -v[142:143]
	v_add_f64 v[62:63], v[22:23], -v[62:63]
	ds_write_b128 v76, v[72:75]
	ds_write_b128 v76, v[68:71] offset:64
	v_and_or_b32 v68, v132, s2, v138
	v_fma_f64 v[64:65], v[20:21], 2.0, -v[60:61]
	v_fma_f64 v[66:67], v[22:23], 2.0, -v[62:63]
	v_lshl_add_u32 v68, v68, 4, 0
	s_movk_i32 s2, 0x3f8
	v_fmac_f64_e32 v[156:157], v[52:53], v[8:9]
	v_add_f64 v[52:53], v[24:25], -v[144:145]
	ds_write_b128 v68, v[64:67]
	ds_write_b128 v68, v[60:63] offset:64
	v_and_or_b32 v60, v123, s2, v138
	v_fma_f64 v[56:57], v[24:25], 2.0, -v[52:53]
	v_fma_f64 v[58:59], v[26:27], 2.0, -v[54:55]
	v_lshl_add_u32 v60, v60, 4, 0
	v_add_f64 v[46:47], v[14:15], -v[146:147]
	ds_write_b128 v60, v[56:59]
	ds_write_b128 v60, v[52:55] offset:64
	v_and_or_b32 v52, v119, s3, v138
	v_fma_f64 v[50:51], v[14:15], 2.0, -v[46:47]
	v_lshl_add_u32 v52, v52, 4, 0
	v_add_f64 v[38:39], v[30:31], -v[150:151]
	ds_write_b128 v52, v[48:51]
	ds_write_b128 v52, v[44:47] offset:64
	v_and_or_b32 v44, v107, s2, v138
	;; [unrolled: 6-line block ×3, first 2 shown]
	v_fma_f64 v[34:35], v[18:19], 2.0, -v[30:31]
	v_lshl_add_u32 v36, v36, 4, 0
	v_add_f64 v[20:21], v[96:97], -v[156:157]
	v_add_f64 v[22:23], v[98:99], -v[158:159]
	ds_write_b128 v36, v[32:35]
	ds_write_b128 v36, v[28:31] offset:64
	v_and_or_b32 v28, v125, s2, v138
	v_fma_f64 v[24:25], v[96:97], 2.0, -v[20:21]
	v_fma_f64 v[26:27], v[98:99], 2.0, -v[22:23]
	v_lshl_add_u32 v28, v28, 4, 0
	s_movk_i32 s2, 0x7f8
	v_add_f64 v[14:15], v[94:95], -v[162:163]
	ds_write_b128 v28, v[24:27]
	ds_write_b128 v28, v[20:23] offset:64
	v_and_or_b32 v20, v121, s2, v138
	v_fma_f64 v[18:19], v[94:95], 2.0, -v[14:15]
	v_lshl_add_u32 v20, v20, 4, 0
	ds_write_b128 v20, v[16:19]
	ds_write_b128 v20, v[12:15] offset:64
	s_and_saveexec_b64 s[2:3], vcc
	s_cbranch_execz .LBB0_23
; %bb.22:
	s_movk_i32 s10, 0x4f8
	v_and_or_b32 v12, v137, s10, v138
	v_lshl_add_u32 v14, v12, 4, 0
	v_mul_f64 v[12:13], v[4:5], v[10:11]
	v_fma_f64 v[12:13], v[6:7], v[8:9], -v[12:13]
	v_mul_f64 v[6:7], v[6:7], v[10:11]
	v_fmac_f64_e32 v[6:7], v[4:5], v[8:9]
	v_add_f64 v[12:13], v[2:3], -v[12:13]
	v_add_f64 v[10:11], v[0:1], -v[6:7]
	v_fma_f64 v[2:3], v[2:3], 2.0, -v[12:13]
	v_fma_f64 v[0:1], v[0:1], 2.0, -v[10:11]
	ds_write_b128 v14, v[0:3]
	ds_write_b128 v14, v[10:13] offset:64
.LBB0_23:
	s_or_b64 exec, exec, s[2:3]
	v_and_b32_e32 v107, 7, v102
	v_lshlrev_b32_e32 v0, 5, v107
	s_waitcnt lgkmcnt(0)
	; wave barrier
	s_waitcnt lgkmcnt(0)
	global_load_dwordx4 v[28:31], v0, s[8:9] offset:96
	global_load_dwordx4 v[32:35], v0, s[8:9] offset:112
	ds_read_b128 v[36:39], v129
	ds_read_b128 v[24:27], v109
	ds_read_b128 v[40:43], v109 offset:7168
	ds_read_b128 v[20:23], v117
	ds_read_b128 v[16:19], v115
	ds_read_b128 v[44:47], v109 offset:13440
	ds_read_b128 v[48:51], v109 offset:14336
	ds_read_b128 v[52:55], v109 offset:8064
	ds_read_b128 v[56:59], v109 offset:8960
	ds_read_b128 v[12:15], v113
	ds_read_b128 v[8:11], v111
	ds_read_b128 v[60:63], v109 offset:15232
	ds_read_b128 v[64:67], v109 offset:16128
	ds_read_b128 v[68:71], v109 offset:9856
	;; [unrolled: 6-line block ×3, first 2 shown]
	ds_read_b128 v[88:91], v109 offset:17920
	s_mov_b32 s2, 0xe8584caa
	s_mov_b32 s3, 0xbfebb67a
	;; [unrolled: 1-line block ×4, first 2 shown]
	s_waitcnt lgkmcnt(0)
	; wave barrier
	s_waitcnt lgkmcnt(0)
	s_mov_b32 s14, 0xe976ee23
	s_mov_b32 s12, 0x429ad128
	;; [unrolled: 1-line block ×16, first 2 shown]
	s_waitcnt vmcnt(1)
	v_mul_f64 v[92:93], v[38:39], v[30:31]
	v_mul_f64 v[94:95], v[36:37], v[30:31]
	s_waitcnt vmcnt(0)
	v_mul_f64 v[96:97], v[78:79], v[34:35]
	v_mul_f64 v[98:99], v[76:77], v[34:35]
	;; [unrolled: 1-line block ×12, first 2 shown]
	v_fmac_f64_e32 v[92:93], v[36:37], v[28:29]
	v_fma_f64 v[36:37], v[38:39], v[28:29], -v[94:95]
	v_mul_f64 v[94:95], v[82:83], v[30:31]
	v_fmac_f64_e32 v[96:97], v[76:77], v[32:33]
	v_mul_f64 v[30:31], v[80:81], v[30:31]
	v_mul_f64 v[136:137], v[46:47], v[34:35]
	;; [unrolled: 1-line block ×11, first 2 shown]
	v_fma_f64 v[76:77], v[78:79], v[32:33], -v[98:99]
	v_mul_f64 v[98:99], v[90:91], v[34:35]
	v_mul_f64 v[34:35], v[88:89], v[34:35]
	v_fma_f64 v[82:83], v[82:83], v[28:29], -v[30:31]
	v_add_f64 v[30:31], v[92:93], v[96:97]
	v_fmac_f64_e32 v[132:133], v[40:41], v[28:29]
	v_fma_f64 v[42:43], v[42:43], v[28:29], -v[134:135]
	v_fmac_f64_e32 v[136:137], v[44:45], v[32:33]
	v_fmac_f64_e32 v[140:141], v[52:53], v[28:29]
	v_fma_f64 v[52:53], v[54:55], v[28:29], -v[142:143]
	v_fmac_f64_e32 v[148:149], v[56:57], v[28:29]
	v_fma_f64 v[58:59], v[58:59], v[28:29], -v[150:151]
	;; [unrolled: 2-line block ×4, first 2 shown]
	v_fmac_f64_e32 v[168:169], v[84:85], v[32:33]
	v_fmac_f64_e32 v[94:95], v[80:81], v[28:29]
	v_fma_f64 v[84:85], v[90:91], v[32:33], -v[34:35]
	v_add_f64 v[28:29], v[24:25], v[92:93]
	v_fmac_f64_e32 v[24:25], -0.5, v[30:31]
	v_add_f64 v[30:31], v[36:37], -v[76:77]
	v_add_f64 v[34:35], v[36:37], v[76:77]
	v_fma_f64 v[44:45], v[46:47], v[32:33], -v[138:139]
	v_fmac_f64_e32 v[144:145], v[48:49], v[32:33]
	v_fma_f64 v[50:51], v[50:51], v[32:33], -v[146:147]
	v_fmac_f64_e32 v[152:153], v[60:61], v[32:33]
	;; [unrolled: 2-line block ×3, first 2 shown]
	v_fma_f64 v[66:67], v[66:67], v[32:33], -v[162:163]
	v_fma_f64 v[78:79], v[86:87], v[32:33], -v[38:39]
	v_fmac_f64_e32 v[98:99], v[88:89], v[32:33]
	v_fma_f64 v[32:33], s[2:3], v[30:31], v[24:25]
	v_fmac_f64_e32 v[24:25], s[10:11], v[30:31]
	v_add_f64 v[30:31], v[26:27], v[36:37]
	v_fmac_f64_e32 v[26:27], -0.5, v[34:35]
	v_add_f64 v[36:37], v[92:93], -v[96:97]
	v_add_f64 v[38:39], v[132:133], v[136:137]
	v_fma_f64 v[34:35], s[10:11], v[36:37], v[26:27]
	v_fmac_f64_e32 v[26:27], s[2:3], v[36:37]
	v_add_f64 v[36:37], v[20:21], v[132:133]
	v_fmac_f64_e32 v[20:21], -0.5, v[38:39]
	v_add_f64 v[38:39], v[42:43], -v[44:45]
	v_fma_f64 v[40:41], s[2:3], v[38:39], v[20:21]
	v_fmac_f64_e32 v[20:21], s[10:11], v[38:39]
	v_add_f64 v[38:39], v[22:23], v[42:43]
	v_add_f64 v[42:43], v[42:43], v[44:45]
	v_add_f64 v[38:39], v[38:39], v[44:45]
	v_fmac_f64_e32 v[22:23], -0.5, v[42:43]
	v_add_f64 v[44:45], v[132:133], -v[136:137]
	v_add_f64 v[46:47], v[140:141], v[144:145]
	v_fma_f64 v[42:43], s[10:11], v[44:45], v[22:23]
	v_fmac_f64_e32 v[22:23], s[2:3], v[44:45]
	v_add_f64 v[44:45], v[16:17], v[140:141]
	v_fmac_f64_e32 v[16:17], -0.5, v[46:47]
	v_add_f64 v[46:47], v[52:53], -v[50:51]
	v_fma_f64 v[48:49], s[2:3], v[46:47], v[16:17]
	v_fmac_f64_e32 v[16:17], s[10:11], v[46:47]
	v_add_f64 v[46:47], v[18:19], v[52:53]
	v_add_f64 v[46:47], v[46:47], v[50:51]
	;; [unrolled: 13-line block ×5, first 2 shown]
	v_add_f64 v[30:31], v[30:31], v[76:77]
	v_add_f64 v[70:71], v[70:71], v[78:79]
	v_fmac_f64_e32 v[6:7], -0.5, v[74:75]
	v_add_f64 v[76:77], v[164:165], -v[168:169]
	v_add_f64 v[78:79], v[94:95], v[98:99]
	v_fma_f64 v[74:75], s[10:11], v[76:77], v[6:7]
	v_fmac_f64_e32 v[6:7], s[2:3], v[76:77]
	v_add_f64 v[76:77], v[0:1], v[94:95]
	v_fmac_f64_e32 v[0:1], -0.5, v[78:79]
	v_add_f64 v[78:79], v[82:83], -v[84:85]
	v_fma_f64 v[80:81], s[2:3], v[78:79], v[0:1]
	v_fmac_f64_e32 v[0:1], s[10:11], v[78:79]
	v_add_f64 v[78:79], v[2:3], v[82:83]
	v_add_f64 v[82:83], v[82:83], v[84:85]
	;; [unrolled: 1-line block ×3, first 2 shown]
	v_fmac_f64_e32 v[2:3], -0.5, v[82:83]
	v_add_f64 v[84:85], v[94:95], -v[98:99]
	v_fma_f64 v[82:83], s[10:11], v[84:85], v[2:3]
	v_fmac_f64_e32 v[2:3], s[2:3], v[84:85]
	v_lshrrev_b32_e32 v84, 3, v102
	v_mul_u32_u24_e32 v84, 24, v84
	v_or_b32_e32 v84, v84, v107
	v_add_f64 v[28:29], v[28:29], v[96:97]
	v_lshl_add_u32 v84, v84, 4, 0
	ds_write_b128 v84, v[28:31]
	ds_write_b128 v84, v[32:35] offset:128
	ds_write_b128 v84, v[24:27] offset:256
	v_lshrrev_b32_e32 v24, 3, v106
	v_mul_lo_u32 v24, v24, 24
	v_or_b32_e32 v24, v24, v107
	v_add_f64 v[36:37], v[36:37], v[136:137]
	v_lshl_add_u32 v24, v24, 4, 0
	ds_write_b128 v24, v[36:39]
	ds_write_b128 v24, v[40:43] offset:128
	ds_write_b128 v24, v[20:23] offset:256
	v_lshrrev_b32_e32 v20, 3, v124
	v_mul_lo_u32 v20, v20, 24
	;; [unrolled: 8-line block ×6, first 2 shown]
	v_or_b32_e32 v4, v4, v107
	v_add_f64 v[76:77], v[76:77], v[98:99]
	v_lshl_add_u32 v4, v4, 4, 0
	s_movk_i32 s2, 0xab
	ds_write_b128 v4, v[76:79]
	ds_write_b128 v4, v[80:83] offset:128
	ds_write_b128 v4, v[0:3] offset:256
	v_mul_lo_u16_sdwa v0, v102, s2 dst_sel:DWORD dst_unused:UNUSED_PAD src0_sel:BYTE_0 src1_sel:DWORD
	v_lshrrev_b16_e32 v60, 12, v0
	v_mul_lo_u16_e32 v0, 24, v60
	v_sub_u16_e32 v61, v102, v0
	v_mov_b32_e32 v0, 6
	v_mul_u32_u24_sdwa v1, v61, v0 dst_sel:DWORD dst_unused:UNUSED_PAD src0_sel:BYTE_0 src1_sel:DWORD
	v_lshlrev_b32_e32 v1, 4, v1
	s_waitcnt lgkmcnt(0)
	; wave barrier
	s_waitcnt lgkmcnt(0)
	global_load_dwordx4 v[20:23], v1, s[8:9] offset:352
	global_load_dwordx4 v[16:19], v1, s[8:9] offset:368
	global_load_dwordx4 v[12:15], v1, s[8:9] offset:384
	global_load_dwordx4 v[4:7], v1, s[8:9] offset:400
	global_load_dwordx4 v[24:27], v1, s[8:9] offset:416
	global_load_dwordx4 v[28:31], v1, s[8:9] offset:432
	v_mul_lo_u16_sdwa v1, v106, s2 dst_sel:DWORD dst_unused:UNUSED_PAD src0_sel:BYTE_0 src1_sel:DWORD
	v_lshrrev_b16_e32 v62, 12, v1
	v_mul_lo_u16_e32 v1, 24, v62
	v_sub_u16_e32 v63, v106, v1
	v_mul_u32_u24_sdwa v1, v63, v0 dst_sel:DWORD dst_unused:UNUSED_PAD src0_sel:BYTE_0 src1_sel:DWORD
	v_lshlrev_b32_e32 v1, 4, v1
	global_load_dwordx4 v[32:35], v1, s[8:9] offset:352
	global_load_dwordx4 v[36:39], v1, s[8:9] offset:368
	;; [unrolled: 1-line block ×6, first 2 shown]
	v_mul_lo_u16_sdwa v1, v124, s2 dst_sel:DWORD dst_unused:UNUSED_PAD src0_sel:BYTE_0 src1_sel:DWORD
	v_lshrrev_b16_e32 v64, 12, v1
	v_mul_lo_u16_e32 v1, 24, v64
	v_sub_u16_e32 v65, v124, v1
	v_mul_u32_u24_sdwa v0, v65, v0 dst_sel:DWORD dst_unused:UNUSED_PAD src0_sel:BYTE_0 src1_sel:DWORD
	v_lshlrev_b32_e32 v0, 4, v0
	global_load_dwordx4 v[56:59], v0, s[8:9] offset:352
	global_load_dwordx4 v[66:69], v0, s[8:9] offset:368
	;; [unrolled: 1-line block ×4, first 2 shown]
	ds_read_b128 v[78:81], v113
	ds_read_b128 v[82:85], v130
	;; [unrolled: 1-line block ×4, first 2 shown]
	ds_read_b128 v[94:97], v109 offset:3584
	global_load_dwordx4 v[132:135], v0, s[8:9] offset:432
	global_load_dwordx4 v[136:139], v0, s[8:9] offset:416
	ds_read_b128 v[140:143], v109 offset:13440
	ds_read_b128 v[144:147], v109 offset:14336
	ds_read_b128 v[8:11], v117
	ds_read_b128 v[0:3], v115
	ds_read_b128 v[148:151], v109 offset:6272
	ds_read_b128 v[152:155], v109 offset:4480
	;; [unrolled: 1-line block ×4, first 2 shown]
	s_mov_b32 s10, 0x37e14327
	s_mov_b32 s2, 0x36b3c0b5
	;; [unrolled: 1-line block ×4, first 2 shown]
	v_mul_u32_u24_e32 v60, 0xa80, v60
	s_waitcnt vmcnt(17) lgkmcnt(12)
	v_mul_f64 v[98:99], v[80:81], v[22:23]
	v_mul_f64 v[22:23], v[78:79], v[22:23]
	v_fmac_f64_e32 v[98:99], v[78:79], v[20:21]
	v_fma_f64 v[164:165], v[80:81], v[20:21], -v[22:23]
	ds_read_b128 v[20:23], v109 offset:10752
	ds_read_b128 v[78:81], v109 offset:9856
	s_waitcnt vmcnt(16) lgkmcnt(13)
	v_mul_f64 v[166:167], v[84:85], v[18:19]
	v_mul_f64 v[18:19], v[82:83], v[18:19]
	v_fmac_f64_e32 v[166:167], v[82:83], v[16:17]
	v_fma_f64 v[82:83], v[84:85], v[16:17], -v[18:19]
	s_waitcnt vmcnt(15) lgkmcnt(12)
	v_mul_f64 v[84:85], v[88:89], v[14:15]
	v_mul_f64 v[14:15], v[86:87], v[14:15]
	v_fmac_f64_e32 v[84:85], v[86:87], v[12:13]
	v_fma_f64 v[86:87], v[88:89], v[12:13], -v[14:15]
	s_waitcnt vmcnt(14) lgkmcnt(1)
	v_mul_f64 v[88:89], v[22:23], v[6:7]
	v_mul_f64 v[6:7], v[20:21], v[6:7]
	ds_read_b128 v[12:15], v109 offset:11648
	ds_read_b128 v[16:19], v109 offset:12544
	v_fmac_f64_e32 v[88:89], v[20:21], v[4:5]
	v_fma_f64 v[168:169], v[22:23], v[4:5], -v[6:7]
	ds_read_b128 v[4:7], v109 offset:16128
	s_waitcnt vmcnt(13)
	v_mul_f64 v[170:171], v[142:143], v[26:27]
	v_mul_f64 v[20:21], v[140:141], v[26:27]
	v_fmac_f64_e32 v[170:171], v[140:141], v[24:25]
	v_fma_f64 v[140:141], v[142:143], v[24:25], -v[20:21]
	ds_read_b128 v[20:23], v109 offset:15232
	s_waitcnt vmcnt(12) lgkmcnt(1)
	v_mul_f64 v[142:143], v[6:7], v[30:31]
	v_fmac_f64_e32 v[142:143], v[4:5], v[28:29]
	v_mul_f64 v[4:5], v[4:5], v[30:31]
	v_fma_f64 v[28:29], v[6:7], v[28:29], -v[4:5]
	s_waitcnt vmcnt(11)
	v_mul_f64 v[172:173], v[96:97], v[34:35]
	v_mul_f64 v[4:5], v[94:95], v[34:35]
	v_fmac_f64_e32 v[172:173], v[94:95], v[32:33]
	v_fma_f64 v[94:95], v[96:97], v[32:33], -v[4:5]
	s_waitcnt vmcnt(10)
	v_mul_f64 v[96:97], v[150:151], v[38:39]
	v_mul_f64 v[30:31], v[148:149], v[38:39]
	ds_read_b128 v[4:7], v109 offset:17024
	ds_read_b128 v[24:27], v109 offset:17920
	v_fmac_f64_e32 v[96:97], v[148:149], v[36:37]
	v_fma_f64 v[148:149], v[150:151], v[36:37], -v[30:31]
	s_waitcnt vmcnt(9)
	v_mul_f64 v[150:151], v[158:159], v[42:43]
	v_mul_f64 v[30:31], v[156:157], v[42:43]
	v_fmac_f64_e32 v[150:151], v[156:157], v[40:41]
	v_fma_f64 v[156:157], v[158:159], v[40:41], -v[30:31]
	s_waitcnt vmcnt(8)
	v_mul_f64 v[158:159], v[14:15], v[46:47]
	v_fmac_f64_e32 v[158:159], v[12:13], v[44:45]
	v_mul_f64 v[12:13], v[12:13], v[46:47]
	v_fma_f64 v[174:175], v[14:15], v[44:45], -v[12:13]
	s_waitcnt vmcnt(7)
	v_mul_f64 v[176:177], v[146:147], v[50:51]
	v_mul_f64 v[12:13], v[144:145], v[50:51]
	v_fmac_f64_e32 v[176:177], v[144:145], v[48:49]
	v_fma_f64 v[144:145], v[146:147], v[48:49], -v[12:13]
	s_waitcnt vmcnt(6) lgkmcnt(1)
	v_mul_f64 v[146:147], v[6:7], v[54:55]
	v_fmac_f64_e32 v[146:147], v[4:5], v[52:53]
	v_mul_f64 v[4:5], v[4:5], v[54:55]
	v_fma_f64 v[178:179], v[6:7], v[52:53], -v[4:5]
	s_waitcnt vmcnt(5)
	v_mul_f64 v[4:5], v[152:153], v[58:59]
	v_fma_f64 v[42:43], v[154:155], v[56:57], -v[4:5]
	s_waitcnt vmcnt(4)
	;; [unrolled: 3-line block ×3, first 2 shown]
	v_mul_f64 v[4:5], v[78:79], v[76:77]
	v_fma_f64 v[46:47], v[80:81], v[74:75], -v[4:5]
	v_mul_f64 v[4:5], v[16:17], v[72:73]
	v_fma_f64 v[50:51], v[18:19], v[70:71], -v[4:5]
	s_waitcnt vmcnt(0)
	v_mul_f64 v[4:5], v[20:21], v[138:139]
	v_mul_f64 v[36:37], v[154:155], v[58:59]
	;; [unrolled: 1-line block ×3, first 2 shown]
	v_fma_f64 v[54:55], v[22:23], v[136:137], -v[4:5]
	s_waitcnt lgkmcnt(0)
	v_mul_f64 v[4:5], v[24:25], v[134:135]
	v_fmac_f64_e32 v[36:37], v[152:153], v[56:57]
	v_fmac_f64_e32 v[48:49], v[16:17], v[70:71]
	v_mul_f64 v[52:53], v[22:23], v[138:139]
	v_mul_f64 v[56:57], v[26:27], v[134:135]
	v_fma_f64 v[58:59], v[26:27], v[132:133], -v[4:5]
	v_add_f64 v[4:5], v[98:99], v[142:143]
	v_add_f64 v[16:17], v[166:167], v[170:171]
	v_mul_f64 v[38:39], v[162:163], v[68:69]
	v_fmac_f64_e32 v[52:53], v[20:21], v[136:137]
	v_fmac_f64_e32 v[56:57], v[24:25], v[132:133]
	v_add_f64 v[6:7], v[164:165], v[28:29]
	v_add_f64 v[14:15], v[164:165], -v[28:29]
	v_add_f64 v[18:19], v[82:83], v[140:141]
	v_add_f64 v[20:21], v[166:167], -v[170:171]
	;; [unrolled: 2-line block ×3, first 2 shown]
	v_add_f64 v[32:33], v[16:17], v[4:5]
	v_fmac_f64_e32 v[38:39], v[160:161], v[66:67]
	v_mul_f64 v[40:41], v[80:81], v[76:77]
	v_add_f64 v[12:13], v[98:99], -v[142:143]
	v_add_f64 v[22:23], v[82:83], -v[140:141]
	v_add_f64 v[26:27], v[86:87], v[168:169]
	v_add_f64 v[30:31], v[168:169], -v[86:87]
	v_add_f64 v[34:35], v[18:19], v[6:7]
	v_add_f64 v[66:67], v[16:17], -v[4:5]
	v_add_f64 v[70:71], v[4:5], -v[24:25]
	;; [unrolled: 1-line block ×3, first 2 shown]
	v_add_f64 v[4:5], v[28:29], v[20:21]
	v_add_f64 v[24:25], v[24:25], v[32:33]
	v_fmac_f64_e32 v[40:41], v[78:79], v[74:75]
	v_add_f64 v[68:69], v[18:19], -v[6:7]
	v_add_f64 v[72:73], v[6:7], -v[26:27]
	;; [unrolled: 1-line block ×3, first 2 shown]
	v_add_f64 v[6:7], v[30:31], v[22:23]
	v_add_f64 v[74:75], v[28:29], -v[20:21]
	v_add_f64 v[28:29], v[12:13], -v[28:29]
	;; [unrolled: 1-line block ×3, first 2 shown]
	v_add_f64 v[26:27], v[26:27], v[34:35]
	v_add_f64 v[12:13], v[4:5], v[12:13]
	;; [unrolled: 1-line block ×3, first 2 shown]
	v_add_f64 v[76:77], v[30:31], -v[22:23]
	v_add_f64 v[30:31], v[14:15], -v[30:31]
	;; [unrolled: 1-line block ×3, first 2 shown]
	v_add_f64 v[14:15], v[6:7], v[14:15]
	v_add_f64 v[6:7], v[92:93], v[26:27]
	v_mov_b64_e32 v[82:83], v[4:5]
	v_mul_f64 v[32:33], v[70:71], s[10:11]
	v_mul_f64 v[34:35], v[72:73], s[10:11]
	;; [unrolled: 1-line block ×7, first 2 shown]
	v_fmac_f64_e32 v[82:83], s[16:17], v[24:25]
	v_mov_b64_e32 v[24:25], v[6:7]
	v_mul_f64 v[76:77], v[76:77], s[14:15]
	v_fmac_f64_e32 v[24:25], s[16:17], v[26:27]
	v_fma_f64 v[26:27], v[66:67], s[18:19], -v[70:71]
	v_fma_f64 v[70:71], v[68:69], s[18:19], -v[72:73]
	;; [unrolled: 1-line block ×3, first 2 shown]
	v_fmac_f64_e32 v[32:33], s[2:3], v[16:17]
	v_fma_f64 v[16:17], v[68:69], s[20:21], -v[34:35]
	v_fmac_f64_e32 v[34:35], s[2:3], v[18:19]
	v_fma_f64 v[68:69], v[20:21], s[12:13], -v[74:75]
	;; [unrolled: 2-line block ×3, first 2 shown]
	v_fma_f64 v[28:29], v[30:31], s[26:27], -v[80:81]
	v_fma_f64 v[72:73], v[22:23], s[12:13], -v[76:77]
	v_fmac_f64_e32 v[76:77], s[22:23], v[30:31]
	v_add_f64 v[34:35], v[34:35], v[24:25]
	v_add_f64 v[66:67], v[66:67], v[82:83]
	v_fmac_f64_e32 v[74:75], s[24:25], v[12:13]
	v_fmac_f64_e32 v[28:29], s[24:25], v[14:15]
	v_add_f64 v[32:33], v[32:33], v[82:83]
	v_add_f64 v[26:27], v[26:27], v[82:83]
	;; [unrolled: 1-line block ×4, first 2 shown]
	v_fmac_f64_e32 v[76:77], s[24:25], v[14:15]
	v_fmac_f64_e32 v[68:69], s[24:25], v[12:13]
	;; [unrolled: 1-line block ×3, first 2 shown]
	v_add_f64 v[14:15], v[34:35], -v[74:75]
	v_add_f64 v[16:17], v[28:29], v[66:67]
	v_add_f64 v[28:29], v[66:67], -v[28:29]
	v_add_f64 v[34:35], v[74:75], v[34:35]
	v_add_f64 v[66:67], v[172:173], v[146:147]
	;; [unrolled: 1-line block ×3, first 2 shown]
	v_fmac_f64_e32 v[78:79], s[24:25], v[12:13]
	v_add_f64 v[12:13], v[76:77], v[32:33]
	v_add_f64 v[20:21], v[26:27], -v[72:73]
	v_add_f64 v[22:23], v[68:69], v[30:31]
	v_add_f64 v[24:25], v[72:73], v[26:27]
	v_add_f64 v[26:27], v[30:31], -v[68:69]
	v_add_f64 v[32:33], v[32:33], -v[76:77]
	v_add_f64 v[68:69], v[94:95], v[178:179]
	v_add_f64 v[76:77], v[148:149], v[144:145]
	;; [unrolled: 1-line block ×4, first 2 shown]
	v_add_f64 v[72:73], v[94:95], -v[178:179]
	v_add_f64 v[84:85], v[156:157], v[174:175]
	v_add_f64 v[92:93], v[76:77], v[68:69]
	v_add_f64 v[94:95], v[74:75], -v[66:67]
	v_add_f64 v[66:67], v[66:67], -v[82:83]
	;; [unrolled: 1-line block ×3, first 2 shown]
	v_add_f64 v[82:83], v[82:83], v[90:91]
	v_add_f64 v[18:19], v[70:71], -v[78:79]
	v_add_f64 v[30:31], v[78:79], v[70:71]
	v_add_f64 v[78:79], v[96:97], -v[176:177]
	v_add_f64 v[80:81], v[148:149], -v[144:145]
	;; [unrolled: 1-line block ×7, first 2 shown]
	v_add_f64 v[84:85], v[84:85], v[92:93]
	v_add_f64 v[8:9], v[8:9], v[82:83]
	v_add_f64 v[70:71], v[172:173], -v[146:147]
	v_add_f64 v[98:99], v[86:87], v[78:79]
	v_add_f64 v[132:133], v[88:89], v[80:81]
	v_add_f64 v[134:135], v[86:87], -v[78:79]
	v_add_f64 v[136:137], v[88:89], -v[80:81]
	v_add_f64 v[80:81], v[80:81], -v[72:73]
	v_add_f64 v[10:11], v[10:11], v[84:85]
	v_mov_b64_e32 v[138:139], v[8:9]
	v_add_f64 v[86:87], v[70:71], -v[86:87]
	v_add_f64 v[88:89], v[72:73], -v[88:89]
	;; [unrolled: 1-line block ×3, first 2 shown]
	v_add_f64 v[70:71], v[98:99], v[70:71]
	v_add_f64 v[72:73], v[132:133], v[72:73]
	v_mul_f64 v[66:67], v[66:67], s[10:11]
	v_mul_f64 v[90:91], v[74:75], s[2:3]
	;; [unrolled: 1-line block ×6, first 2 shown]
	v_fmac_f64_e32 v[138:139], s[16:17], v[82:83]
	v_mov_b64_e32 v[82:83], v[10:11]
	v_mul_f64 v[68:69], v[68:69], s[10:11]
	v_mul_f64 v[134:135], v[78:79], s[12:13]
	v_fmac_f64_e32 v[82:83], s[16:17], v[84:85]
	v_fma_f64 v[84:85], v[94:95], s[18:19], -v[90:91]
	v_fma_f64 v[90:91], v[96:97], s[18:19], -v[92:93]
	;; [unrolled: 1-line block ×5, first 2 shown]
	v_fmac_f64_e32 v[132:133], s[22:23], v[88:89]
	v_fma_f64 v[88:89], v[88:89], s[26:27], -v[136:137]
	v_fmac_f64_e32 v[66:67], s[2:3], v[74:75]
	v_fma_f64 v[74:75], v[96:97], s[20:21], -v[68:69]
	v_fmac_f64_e32 v[68:69], s[2:3], v[76:77]
	v_fmac_f64_e32 v[98:99], s[22:23], v[86:87]
	v_fma_f64 v[86:87], v[86:87], s[26:27], -v[134:135]
	v_add_f64 v[80:81], v[84:85], v[138:139]
	v_add_f64 v[84:85], v[90:91], v[82:83]
	;; [unrolled: 1-line block ×3, first 2 shown]
	v_fmac_f64_e32 v[88:89], s[24:25], v[72:73]
	v_add_f64 v[134:135], v[68:69], v[82:83]
	v_add_f64 v[92:93], v[74:75], v[82:83]
	v_fmac_f64_e32 v[98:99], s[24:25], v[70:71]
	v_fmac_f64_e32 v[94:95], s[24:25], v[70:71]
	;; [unrolled: 1-line block ×4, first 2 shown]
	v_add_f64 v[70:71], v[88:89], v[90:91]
	v_add_f64 v[82:83], v[90:91], -v[88:89]
	v_add_f64 v[90:91], v[36:37], v[56:57]
	v_add_f64 v[36:37], v[36:37], -v[56:57]
	v_add_f64 v[56:57], v[38:39], v[52:53]
	v_fmac_f64_e32 v[132:133], s[24:25], v[72:73]
	v_add_f64 v[72:73], v[92:93], -v[86:87]
	v_add_f64 v[74:75], v[80:81], -v[78:79]
	v_add_f64 v[76:77], v[94:95], v[84:85]
	v_add_f64 v[78:79], v[78:79], v[80:81]
	v_add_f64 v[80:81], v[84:85], -v[94:95]
	v_add_f64 v[84:85], v[86:87], v[92:93]
	v_add_f64 v[92:93], v[42:43], v[58:59]
	v_add_f64 v[42:43], v[42:43], -v[58:59]
	v_add_f64 v[58:59], v[44:45], v[54:55]
	v_add_f64 v[38:39], v[38:39], -v[52:53]
	;; [unrolled: 2-line block ×5, first 2 shown]
	v_add_f64 v[50:51], v[58:59], v[92:93]
	v_add_f64 v[48:49], v[52:53], v[48:49]
	;; [unrolled: 1-line block ×6, first 2 shown]
	v_add_f64 v[86:87], v[96:97], -v[132:133]
	v_add_f64 v[94:95], v[56:57], -v[90:91]
	;; [unrolled: 1-line block ×7, first 2 shown]
	v_add_f64 v[2:3], v[2:3], v[50:51]
	v_mov_b64_e32 v[138:139], v[0:1]
	v_add_f64 v[68:69], v[134:135], -v[98:99]
	v_add_f64 v[88:89], v[98:99], v[134:135]
	v_add_f64 v[98:99], v[40:41], v[38:39]
	;; [unrolled: 1-line block ×3, first 2 shown]
	v_add_f64 v[134:135], v[40:41], -v[38:39]
	v_add_f64 v[136:137], v[46:47], -v[44:45]
	;; [unrolled: 1-line block ×4, first 2 shown]
	v_mul_f64 v[52:53], v[90:91], s[10:11]
	v_mul_f64 v[54:55], v[92:93], s[10:11]
	;; [unrolled: 1-line block ×4, first 2 shown]
	v_fmac_f64_e32 v[138:139], s[16:17], v[48:49]
	v_mov_b64_e32 v[48:49], v[2:3]
	v_add_f64 v[40:41], v[36:37], -v[40:41]
	v_add_f64 v[46:47], v[42:43], -v[46:47]
	v_add_f64 v[36:37], v[98:99], v[36:37]
	v_add_f64 v[42:43], v[132:133], v[42:43]
	v_mul_f64 v[98:99], v[134:135], s[14:15]
	v_mul_f64 v[132:133], v[136:137], s[14:15]
	;; [unrolled: 1-line block ×4, first 2 shown]
	v_fmac_f64_e32 v[48:49], s[16:17], v[50:51]
	v_fma_f64 v[50:51], v[94:95], s[18:19], -v[90:91]
	v_fma_f64 v[90:91], v[96:97], s[18:19], -v[92:93]
	;; [unrolled: 1-line block ×3, first 2 shown]
	v_fmac_f64_e32 v[52:53], s[2:3], v[56:57]
	v_fma_f64 v[56:57], v[96:97], s[20:21], -v[54:55]
	v_fma_f64 v[96:97], v[40:41], s[26:27], -v[134:135]
	;; [unrolled: 1-line block ×3, first 2 shown]
	v_add_f64 v[136:137], v[52:53], v[138:139]
	v_add_f64 v[52:53], v[90:91], v[48:49]
	v_mov_b32_e32 v90, 4
	v_lshlrev_b32_sdwa v61, v90, v61 dst_sel:DWORD dst_unused:UNUSED_PAD src0_sel:DWORD src1_sel:BYTE_0
	v_add3_u32 v60, 0, v60, v61
	s_waitcnt lgkmcnt(0)
	; wave barrier
	ds_write_b128 v60, v[4:7]
	ds_write_b128 v60, v[12:15] offset:384
	ds_write_b128 v60, v[16:19] offset:768
	;; [unrolled: 1-line block ×6, first 2 shown]
	v_mul_u32_u24_e32 v4, 0xa80, v62
	v_lshlrev_b32_sdwa v5, v90, v63 dst_sel:DWORD dst_unused:UNUSED_PAD src0_sel:DWORD src1_sel:BYTE_0
	v_add3_u32 v4, 0, v4, v5
	v_fmac_f64_e32 v[54:55], s[2:3], v[58:59]
	v_fma_f64 v[58:59], v[38:39], s[12:13], -v[98:99]
	v_fmac_f64_e32 v[98:99], s[22:23], v[40:41]
	v_fma_f64 v[94:95], v[44:45], s[12:13], -v[132:133]
	v_fmac_f64_e32 v[132:133], s[22:23], v[46:47]
	ds_write_b128 v4, v[8:11]
	ds_write_b128 v4, v[66:69] offset:384
	ds_write_b128 v4, v[70:73] offset:768
	;; [unrolled: 1-line block ×6, first 2 shown]
	v_mul_u32_u24_e32 v4, 0xa80, v64
	v_lshlrev_b32_sdwa v5, v90, v65 dst_sel:DWORD dst_unused:UNUSED_PAD src0_sel:DWORD src1_sel:BYTE_0
	v_add_f64 v[140:141], v[54:55], v[48:49]
	v_add_f64 v[50:51], v[50:51], v[138:139]
	;; [unrolled: 1-line block ×4, first 2 shown]
	v_fmac_f64_e32 v[98:99], s[24:25], v[36:37]
	v_fmac_f64_e32 v[132:133], s[24:25], v[42:43]
	;; [unrolled: 1-line block ×6, first 2 shown]
	v_add3_u32 v4, 0, v4, v5
	v_add_f64 v[36:37], v[132:133], v[136:137]
	v_add_f64 v[38:39], v[140:141], -v[98:99]
	v_add_f64 v[40:41], v[134:135], v[54:55]
	v_add_f64 v[42:43], v[56:57], -v[96:97]
	v_add_f64 v[44:45], v[50:51], -v[94:95]
	v_add_f64 v[46:47], v[58:59], v[52:53]
	v_add_f64 v[48:49], v[94:95], v[50:51]
	v_add_f64 v[50:51], v[52:53], -v[58:59]
	v_add_f64 v[52:53], v[54:55], -v[134:135]
	v_add_f64 v[54:55], v[96:97], v[56:57]
	v_add_f64 v[56:57], v[136:137], -v[132:133]
	v_add_f64 v[58:59], v[98:99], v[140:141]
	ds_write_b128 v4, v[0:3]
	ds_write_b128 v4, v[36:39] offset:384
	ds_write_b128 v4, v[40:43] offset:768
	;; [unrolled: 1-line block ×6, first 2 shown]
	v_mul_u32_u24_e32 v0, 6, v102
	v_lshlrev_b32_e32 v0, 4, v0
	s_waitcnt lgkmcnt(0)
	; wave barrier
	s_waitcnt lgkmcnt(0)
	global_load_dwordx4 v[16:19], v0, s[8:9] offset:2656
	global_load_dwordx4 v[12:15], v0, s[8:9] offset:2672
	;; [unrolled: 1-line block ×6, first 2 shown]
	v_mul_i32_i24_e32 v36, 6, v106
	v_mov_b32_e32 v37, 0
	v_lshl_add_u64 v[0:1], v[36:37], 4, s[8:9]
	global_load_dwordx4 v[28:31], v[0:1], off offset:2656
	global_load_dwordx4 v[38:41], v[0:1], off offset:2672
	;; [unrolled: 1-line block ×6, first 2 shown]
	v_mul_i32_i24_e32 v36, 6, v124
	v_lshl_add_u64 v[0:1], v[36:37], 4, s[8:9]
	global_load_dwordx4 v[58:61], v[0:1], off offset:2656
	global_load_dwordx4 v[62:65], v[0:1], off offset:2672
	;; [unrolled: 1-line block ×4, first 2 shown]
	ds_read_b128 v[74:77], v113
	ds_read_b128 v[78:81], v130
	;; [unrolled: 1-line block ×4, first 2 shown]
	ds_read_b128 v[90:93], v109 offset:3584
	global_load_dwordx4 v[94:97], v[0:1], off offset:2736
	global_load_dwordx4 v[132:135], v[0:1], off offset:2720
	ds_read_b128 v[136:139], v109 offset:13440
	ds_read_b128 v[140:143], v109 offset:14336
	ds_read_b128 v[32:35], v117
	ds_read_b128 v[0:3], v115
	ds_read_b128 v[144:147], v109 offset:6272
	ds_read_b128 v[148:151], v109 offset:4480
	;; [unrolled: 1-line block ×6, first 2 shown]
	s_add_u32 s8, s8, 0x4960
	s_addc_u32 s9, s9, 0
	s_waitcnt vmcnt(17) lgkmcnt(14)
	v_mul_f64 v[98:99], v[76:77], v[18:19]
	v_mul_f64 v[18:19], v[74:75], v[18:19]
	v_fmac_f64_e32 v[98:99], v[74:75], v[16:17]
	v_fma_f64 v[74:75], v[76:77], v[16:17], -v[18:19]
	s_waitcnt vmcnt(16) lgkmcnt(13)
	v_mul_f64 v[76:77], v[80:81], v[14:15]
	v_mul_f64 v[14:15], v[78:79], v[14:15]
	v_fmac_f64_e32 v[76:77], v[78:79], v[12:13]
	v_fma_f64 v[78:79], v[80:81], v[12:13], -v[14:15]
	;; [unrolled: 5-line block ×3, first 2 shown]
	s_waitcnt vmcnt(14) lgkmcnt(1)
	v_mul_f64 v[84:85], v[162:163], v[6:7]
	v_mul_f64 v[6:7], v[160:161], v[6:7]
	ds_read_b128 v[12:15], v109 offset:11648
	ds_read_b128 v[16:19], v109 offset:12544
	v_fmac_f64_e32 v[84:85], v[160:161], v[4:5]
	v_fma_f64 v[160:161], v[162:163], v[4:5], -v[6:7]
	ds_read_b128 v[4:7], v109 offset:16128
	ds_read_b128 v[8:11], v109 offset:15232
	s_waitcnt vmcnt(13)
	v_mul_f64 v[162:163], v[138:139], v[22:23]
	v_mul_f64 v[22:23], v[136:137], v[22:23]
	v_fmac_f64_e32 v[162:163], v[136:137], v[20:21]
	v_fma_f64 v[136:137], v[138:139], v[20:21], -v[22:23]
	s_waitcnt vmcnt(12) lgkmcnt(1)
	v_mul_f64 v[138:139], v[6:7], v[26:27]
	v_fmac_f64_e32 v[138:139], v[4:5], v[24:25]
	v_mul_f64 v[4:5], v[4:5], v[26:27]
	s_waitcnt vmcnt(11)
	v_mul_f64 v[168:169], v[92:93], v[30:31]
	v_mul_f64 v[26:27], v[90:91], v[30:31]
	v_fmac_f64_e32 v[168:169], v[90:91], v[28:29]
	v_fma_f64 v[90:91], v[92:93], v[28:29], -v[26:27]
	s_waitcnt vmcnt(10)
	v_mul_f64 v[92:93], v[146:147], v[40:41]
	v_mul_f64 v[26:27], v[144:145], v[40:41]
	v_fma_f64 v[24:25], v[6:7], v[24:25], -v[4:5]
	ds_read_b128 v[4:7], v109 offset:17024
	ds_read_b128 v[20:23], v109 offset:17920
	v_fmac_f64_e32 v[92:93], v[144:145], v[38:39]
	v_fma_f64 v[144:145], v[146:147], v[38:39], -v[26:27]
	s_waitcnt vmcnt(9)
	v_mul_f64 v[146:147], v[154:155], v[44:45]
	v_mul_f64 v[26:27], v[152:153], v[44:45]
	v_fmac_f64_e32 v[146:147], v[152:153], v[42:43]
	v_fma_f64 v[152:153], v[154:155], v[42:43], -v[26:27]
	s_waitcnt vmcnt(8)
	v_mul_f64 v[154:155], v[14:15], v[48:49]
	v_fmac_f64_e32 v[154:155], v[12:13], v[46:47]
	v_mul_f64 v[12:13], v[12:13], v[48:49]
	v_fma_f64 v[170:171], v[14:15], v[46:47], -v[12:13]
	s_waitcnt vmcnt(7)
	v_mul_f64 v[172:173], v[142:143], v[52:53]
	v_mul_f64 v[12:13], v[140:141], v[52:53]
	v_fmac_f64_e32 v[172:173], v[140:141], v[50:51]
	v_fma_f64 v[140:141], v[142:143], v[50:51], -v[12:13]
	s_waitcnt vmcnt(6) lgkmcnt(1)
	v_mul_f64 v[142:143], v[6:7], v[56:57]
	v_fmac_f64_e32 v[142:143], v[4:5], v[54:55]
	v_mul_f64 v[4:5], v[4:5], v[56:57]
	v_fma_f64 v[54:55], v[6:7], v[54:55], -v[4:5]
	s_waitcnt vmcnt(5)
	v_mul_f64 v[4:5], v[148:149], v[60:61]
	v_fma_f64 v[44:45], v[150:151], v[58:59], -v[4:5]
	s_waitcnt vmcnt(4)
	;; [unrolled: 3-line block ×3, first 2 shown]
	v_mul_f64 v[4:5], v[164:165], v[72:73]
	v_mul_f64 v[38:39], v[150:151], v[60:61]
	v_fma_f64 v[48:49], v[166:167], v[70:71], -v[4:5]
	v_mul_f64 v[4:5], v[16:17], v[68:69]
	v_fmac_f64_e32 v[38:39], v[148:149], v[58:59]
	v_fma_f64 v[52:53], v[18:19], v[66:67], -v[4:5]
	s_waitcnt vmcnt(0)
	v_mul_f64 v[148:149], v[10:11], v[134:135]
	v_mul_f64 v[4:5], v[8:9], v[134:135]
	v_fmac_f64_e32 v[148:149], v[8:9], v[132:133]
	v_fma_f64 v[132:133], v[10:11], v[132:133], -v[4:5]
	s_waitcnt lgkmcnt(0)
	v_mul_f64 v[134:135], v[22:23], v[96:97]
	v_mul_f64 v[4:5], v[20:21], v[96:97]
	;; [unrolled: 1-line block ×3, first 2 shown]
	v_fmac_f64_e32 v[134:135], v[20:21], v[94:95]
	v_fma_f64 v[94:95], v[22:23], v[94:95], -v[4:5]
	v_add_f64 v[4:5], v[98:99], v[138:139]
	v_add_f64 v[12:13], v[76:77], v[162:163]
	v_fmac_f64_e32 v[50:51], v[16:17], v[66:67]
	v_add_f64 v[6:7], v[74:75], v[24:25]
	v_add_f64 v[10:11], v[74:75], -v[24:25]
	v_add_f64 v[14:15], v[78:79], v[136:137]
	v_add_f64 v[16:17], v[76:77], -v[162:163]
	;; [unrolled: 2-line block ×3, first 2 shown]
	v_add_f64 v[28:29], v[12:13], v[4:5]
	v_mul_f64 v[40:41], v[158:159], v[64:65]
	v_add_f64 v[8:9], v[98:99], -v[138:139]
	v_add_f64 v[18:19], v[78:79], -v[136:137]
	v_add_f64 v[22:23], v[82:83], v[160:161]
	v_add_f64 v[26:27], v[160:161], -v[82:83]
	v_add_f64 v[30:31], v[14:15], v[6:7]
	v_add_f64 v[56:57], v[12:13], -v[4:5]
	v_add_f64 v[60:61], v[4:5], -v[20:21]
	;; [unrolled: 1-line block ×3, first 2 shown]
	v_add_f64 v[4:5], v[24:25], v[16:17]
	v_add_f64 v[20:21], v[20:21], v[28:29]
	v_fmac_f64_e32 v[40:41], v[156:157], v[62:63]
	v_add_f64 v[58:59], v[14:15], -v[6:7]
	v_add_f64 v[62:63], v[6:7], -v[22:23]
	;; [unrolled: 1-line block ×3, first 2 shown]
	v_add_f64 v[6:7], v[26:27], v[18:19]
	v_add_f64 v[64:65], v[24:25], -v[16:17]
	v_add_f64 v[24:25], v[8:9], -v[24:25]
	v_add_f64 v[16:17], v[16:17], -v[8:9]
	v_add_f64 v[22:23], v[22:23], v[30:31]
	v_add_f64 v[8:9], v[4:5], v[8:9]
	v_add_f64 v[4:5], v[86:87], v[20:21]
	v_mul_f64 v[42:43], v[166:167], v[72:73]
	v_add_f64 v[66:67], v[26:27], -v[18:19]
	v_add_f64 v[26:27], v[10:11], -v[26:27]
	;; [unrolled: 1-line block ×3, first 2 shown]
	v_add_f64 v[10:11], v[6:7], v[10:11]
	v_add_f64 v[6:7], v[88:89], v[22:23]
	v_mov_b64_e32 v[72:73], v[4:5]
	v_fmac_f64_e32 v[42:43], v[164:165], v[70:71]
	v_mul_f64 v[28:29], v[60:61], s[10:11]
	v_mul_f64 v[30:31], v[62:63], s[10:11]
	;; [unrolled: 1-line block ×8, first 2 shown]
	v_fmac_f64_e32 v[72:73], s[16:17], v[20:21]
	v_mov_b64_e32 v[20:21], v[6:7]
	v_fmac_f64_e32 v[20:21], s[16:17], v[22:23]
	v_fma_f64 v[22:23], v[56:57], s[18:19], -v[60:61]
	v_fma_f64 v[60:61], v[58:59], s[18:19], -v[62:63]
	;; [unrolled: 1-line block ×3, first 2 shown]
	v_fmac_f64_e32 v[28:29], s[2:3], v[12:13]
	v_fma_f64 v[12:13], v[58:59], s[20:21], -v[30:31]
	v_fma_f64 v[58:59], v[16:17], s[12:13], -v[64:65]
	v_fmac_f64_e32 v[64:65], s[22:23], v[24:25]
	v_fma_f64 v[62:63], v[18:19], s[12:13], -v[66:67]
	v_fma_f64 v[68:69], v[24:25], s[26:27], -v[68:69]
	v_fma_f64 v[24:25], v[26:27], s[26:27], -v[70:71]
	v_fmac_f64_e32 v[30:31], s[2:3], v[14:15]
	v_add_f64 v[22:23], v[22:23], v[72:73]
	v_add_f64 v[56:57], v[56:57], v[72:73]
	v_fmac_f64_e32 v[62:63], s[24:25], v[10:11]
	v_fmac_f64_e32 v[24:25], s[24:25], v[10:11]
	;; [unrolled: 1-line block ×3, first 2 shown]
	v_add_f64 v[30:31], v[30:31], v[20:21]
	v_add_f64 v[26:27], v[60:61], v[20:21]
	;; [unrolled: 1-line block ×3, first 2 shown]
	v_fmac_f64_e32 v[64:65], s[24:25], v[8:9]
	v_fmac_f64_e32 v[58:59], s[24:25], v[8:9]
	v_add_f64 v[12:13], v[24:25], v[56:57]
	v_add_f64 v[16:17], v[22:23], -v[62:63]
	v_add_f64 v[20:21], v[62:63], v[22:23]
	v_add_f64 v[24:25], v[56:57], -v[24:25]
	v_add_f64 v[56:57], v[168:169], v[142:143]
	v_add_f64 v[62:63], v[92:93], v[172:173]
	v_fmac_f64_e32 v[66:67], s[24:25], v[10:11]
	v_add_f64 v[10:11], v[30:31], -v[64:65]
	v_add_f64 v[18:19], v[58:59], v[26:27]
	v_add_f64 v[22:23], v[26:27], -v[58:59]
	v_add_f64 v[30:31], v[64:65], v[30:31]
	v_add_f64 v[58:59], v[90:91], v[54:55]
	;; [unrolled: 1-line block ×6, first 2 shown]
	v_fmac_f64_e32 v[68:69], s[24:25], v[8:9]
	v_add_f64 v[72:73], v[152:153], v[170:171]
	v_add_f64 v[80:81], v[64:65], v[58:59]
	v_add_f64 v[82:83], v[62:63], -v[56:57]
	v_add_f64 v[56:57], v[56:57], -v[70:71]
	;; [unrolled: 1-line block ×3, first 2 shown]
	v_add_f64 v[70:71], v[70:71], v[78:79]
	v_add_f64 v[8:9], v[66:67], v[28:29]
	v_add_f64 v[14:15], v[60:61], -v[68:69]
	v_add_f64 v[26:27], v[68:69], v[60:61]
	v_add_f64 v[28:29], v[28:29], -v[66:67]
	v_add_f64 v[54:55], v[90:91], -v[54:55]
	;; [unrolled: 1-line block ×9, first 2 shown]
	v_add_f64 v[72:73], v[72:73], v[80:81]
	v_add_f64 v[32:33], v[32:33], v[70:71]
	v_add_f64 v[60:61], v[168:169], -v[142:143]
	v_add_f64 v[86:87], v[74:75], v[66:67]
	v_add_f64 v[88:89], v[76:77], v[68:69]
	v_add_f64 v[90:91], v[74:75], -v[66:67]
	v_add_f64 v[92:93], v[76:77], -v[68:69]
	v_add_f64 v[68:69], v[68:69], -v[54:55]
	v_add_f64 v[34:35], v[34:35], v[72:73]
	v_mov_b64_e32 v[96:97], v[32:33]
	v_add_f64 v[74:75], v[60:61], -v[74:75]
	v_add_f64 v[76:77], v[54:55], -v[76:77]
	;; [unrolled: 1-line block ×3, first 2 shown]
	v_add_f64 v[60:61], v[86:87], v[60:61]
	v_add_f64 v[54:55], v[88:89], v[54:55]
	v_mul_f64 v[56:57], v[56:57], s[10:11]
	v_mul_f64 v[78:79], v[62:63], s[2:3]
	;; [unrolled: 1-line block ×6, first 2 shown]
	v_fmac_f64_e32 v[96:97], s[16:17], v[70:71]
	v_mov_b64_e32 v[70:71], v[34:35]
	v_mul_f64 v[58:59], v[58:59], s[10:11]
	v_mul_f64 v[90:91], v[66:67], s[12:13]
	v_fmac_f64_e32 v[70:71], s[16:17], v[72:73]
	v_fma_f64 v[72:73], v[82:83], s[18:19], -v[78:79]
	v_fma_f64 v[78:79], v[84:85], s[18:19], -v[80:81]
	;; [unrolled: 1-line block ×5, first 2 shown]
	v_fmac_f64_e32 v[88:89], s[22:23], v[76:77]
	v_fma_f64 v[76:77], v[76:77], s[26:27], -v[92:93]
	v_fmac_f64_e32 v[56:57], s[2:3], v[62:63]
	v_fma_f64 v[62:63], v[84:85], s[20:21], -v[58:59]
	v_fmac_f64_e32 v[58:59], s[2:3], v[64:65]
	v_fmac_f64_e32 v[86:87], s[22:23], v[74:75]
	v_fma_f64 v[74:75], v[74:75], s[26:27], -v[90:91]
	v_add_f64 v[68:69], v[72:73], v[96:97]
	v_add_f64 v[72:73], v[78:79], v[70:71]
	v_add_f64 v[78:79], v[80:81], v[96:97]
	v_fmac_f64_e32 v[82:83], s[24:25], v[60:61]
	v_fmac_f64_e32 v[66:67], s[24:25], v[54:55]
	;; [unrolled: 1-line block ×3, first 2 shown]
	v_add_f64 v[84:85], v[56:57], v[96:97]
	v_add_f64 v[90:91], v[58:59], v[70:71]
	;; [unrolled: 1-line block ×3, first 2 shown]
	v_fmac_f64_e32 v[86:87], s[24:25], v[60:61]
	v_fmac_f64_e32 v[88:89], s[24:25], v[54:55]
	;; [unrolled: 1-line block ×3, first 2 shown]
	v_add_f64 v[58:59], v[76:77], v[78:79]
	v_add_f64 v[62:63], v[68:69], -v[66:67]
	v_add_f64 v[64:65], v[82:83], v[72:73]
	v_add_f64 v[66:67], v[66:67], v[68:69]
	v_add_f64 v[68:69], v[72:73], -v[82:83]
	v_add_f64 v[70:71], v[78:79], -v[76:77]
	v_add_f64 v[78:79], v[38:39], v[134:135]
	v_add_f64 v[82:83], v[40:41], v[148:149]
	;; [unrolled: 1-line block ×3, first 2 shown]
	v_add_f64 v[56:57], v[90:91], -v[86:87]
	v_add_f64 v[60:61], v[80:81], -v[74:75]
	v_add_f64 v[72:73], v[74:75], v[80:81]
	v_add_f64 v[74:75], v[84:85], -v[88:89]
	v_add_f64 v[76:77], v[86:87], v[90:91]
	v_add_f64 v[80:81], v[44:45], v[94:95]
	;; [unrolled: 1-line block ×4, first 2 shown]
	v_add_f64 v[42:43], v[50:51], -v[42:43]
	v_add_f64 v[50:51], v[82:83], v[78:79]
	v_add_f64 v[88:89], v[48:49], v[52:53]
	v_add_f64 v[48:49], v[52:53], -v[48:49]
	v_add_f64 v[52:53], v[84:85], v[80:81]
	v_add_f64 v[50:51], v[86:87], v[50:51]
	v_add_f64 v[38:39], v[38:39], -v[134:135]
	v_add_f64 v[44:45], v[44:45], -v[94:95]
	v_add_f64 v[40:41], v[40:41], -v[148:149]
	v_add_f64 v[46:47], v[46:47], -v[132:133]
	v_add_f64 v[52:53], v[88:89], v[52:53]
	v_add_f64 v[0:1], v[0:1], v[50:51]
	v_add_f64 v[90:91], v[82:83], -v[78:79]
	v_add_f64 v[92:93], v[84:85], -v[80:81]
	;; [unrolled: 1-line block ×6, first 2 shown]
	v_add_f64 v[94:95], v[42:43], v[40:41]
	v_add_f64 v[96:97], v[48:49], v[46:47]
	v_add_f64 v[98:99], v[42:43], -v[40:41]
	v_add_f64 v[132:133], v[48:49], -v[46:47]
	;; [unrolled: 1-line block ×4, first 2 shown]
	v_add_f64 v[2:3], v[2:3], v[52:53]
	v_mov_b64_e32 v[134:135], v[0:1]
	v_add_f64 v[42:43], v[38:39], -v[42:43]
	v_add_f64 v[48:49], v[44:45], -v[48:49]
	v_add_f64 v[38:39], v[94:95], v[38:39]
	v_add_f64 v[44:45], v[96:97], v[44:45]
	v_mul_f64 v[78:79], v[78:79], s[10:11]
	v_mul_f64 v[80:81], v[80:81], s[10:11]
	;; [unrolled: 1-line block ×8, first 2 shown]
	v_fmac_f64_e32 v[134:135], s[16:17], v[50:51]
	v_mov_b64_e32 v[50:51], v[2:3]
	v_fmac_f64_e32 v[50:51], s[16:17], v[52:53]
	v_fma_f64 v[52:53], s[2:3], v[82:83], v[78:79]
	v_fma_f64 v[82:83], v[90:91], s[18:19], -v[86:87]
	v_fma_f64 v[86:87], v[92:93], s[18:19], -v[88:89]
	;; [unrolled: 1-line block ×4, first 2 shown]
	v_fmac_f64_e32 v[80:81], s[2:3], v[84:85]
	v_fma_f64 v[84:85], s[22:23], v[42:43], v[94:95]
	v_fma_f64 v[90:91], v[40:41], s[12:13], -v[94:95]
	v_fma_f64 v[92:93], v[46:47], s[12:13], -v[96:97]
	v_fmac_f64_e32 v[96:97], s[22:23], v[48:49]
	v_fma_f64 v[94:95], v[42:43], s[26:27], -v[98:99]
	v_fma_f64 v[98:99], v[48:49], s[26:27], -v[132:133]
	v_add_f64 v[132:133], v[52:53], v[134:135]
	v_add_f64 v[136:137], v[80:81], v[50:51]
	;; [unrolled: 1-line block ×6, first 2 shown]
	v_fmac_f64_e32 v[84:85], s[24:25], v[38:39]
	v_fmac_f64_e32 v[96:97], s[24:25], v[44:45]
	;; [unrolled: 1-line block ×6, first 2 shown]
	v_add_f64 v[38:39], v[96:97], v[132:133]
	v_add_f64 v[40:41], v[136:137], -v[84:85]
	v_add_f64 v[42:43], v[98:99], v[78:79]
	v_add_f64 v[44:45], v[82:83], -v[94:95]
	v_add_f64 v[46:47], v[52:53], -v[92:93]
	v_add_f64 v[48:49], v[90:91], v[80:81]
	v_add_f64 v[50:51], v[92:93], v[52:53]
	v_add_f64 v[52:53], v[80:81], -v[90:91]
	v_add_f64 v[78:79], v[78:79], -v[98:99]
	v_add_f64 v[80:81], v[94:95], v[82:83]
	v_add_f64 v[82:83], v[132:133], -v[96:97]
	v_add_f64 v[84:85], v[84:85], v[136:137]
	s_waitcnt lgkmcnt(0)
	; wave barrier
	ds_write_b128 v109, v[4:7]
	ds_write_b128 v109, v[8:11] offset:2688
	ds_write_b128 v109, v[12:15] offset:5376
	ds_write_b128 v109, v[16:19] offset:8064
	ds_write_b128 v109, v[20:23] offset:10752
	ds_write_b128 v109, v[24:27] offset:13440
	ds_write_b128 v109, v[28:31] offset:16128
	ds_write_b128 v117, v[32:35]
	ds_write_b128 v117, v[54:57] offset:2688
	ds_write_b128 v117, v[58:61] offset:5376
	ds_write_b128 v117, v[62:65] offset:8064
	ds_write_b128 v117, v[66:69] offset:10752
	ds_write_b128 v117, v[70:73] offset:13440
	ds_write_b128 v117, v[74:77] offset:16128
	;; [unrolled: 7-line block ×3, first 2 shown]
	s_waitcnt lgkmcnt(0)
	; wave barrier
	s_waitcnt lgkmcnt(0)
	ds_read_b128 v[4:7], v109
	v_sub_u32_e32 v16, 0, v103
	v_cmp_ne_u32_e64 s[2:3], 0, v102
                                        ; implicit-def: $vgpr2_vgpr3
                                        ; implicit-def: $vgpr8_vgpr9
	s_and_saveexec_b64 s[10:11], s[2:3]
	s_xor_b64 s[2:3], exec, s[10:11]
	s_cbranch_execz .LBB0_25
; %bb.24:
	v_mov_b32_e32 v103, v37
	v_lshl_add_u64 v[0:1], v[102:103], 4, s[8:9]
	global_load_dwordx4 v[10:13], v[0:1], off
	ds_read_b128 v[0:3], v16 offset:18816
	s_waitcnt lgkmcnt(0)
	v_add_f64 v[14:15], v[4:5], v[0:1]
	v_add_f64 v[0:1], v[4:5], -v[0:1]
	v_add_f64 v[8:9], v[6:7], v[2:3]
	v_add_f64 v[2:3], v[6:7], -v[2:3]
	v_mul_f64 v[6:7], v[0:1], 0.5
	v_mul_f64 v[0:1], v[2:3], 0.5
	;; [unrolled: 1-line block ×3, first 2 shown]
	s_waitcnt vmcnt(0)
	v_mul_f64 v[2:3], v[6:7], v[12:13]
	v_fma_f64 v[18:19], 0.5, v[14:15], v[2:3]
	v_fma_f64 v[8:9], v[4:5], v[12:13], v[0:1]
	v_fma_f64 v[12:13], v[4:5], v[12:13], -v[0:1]
	v_fma_f64 v[0:1], v[14:15], 0.5, -v[2:3]
	v_fmac_f64_e32 v[18:19], v[4:5], v[10:11]
	v_fma_f64 v[8:9], -v[10:11], v[6:7], v[8:9]
	v_fma_f64 v[0:1], -v[4:5], v[10:11], v[0:1]
	ds_write_b64 v109, v[18:19]
	v_fma_f64 v[2:3], -v[10:11], v[6:7], v[12:13]
                                        ; implicit-def: $vgpr4_vgpr5
.LBB0_25:
	s_andn2_saveexec_b64 s[2:3], s[2:3]
	s_cbranch_execz .LBB0_27
; %bb.26:
	v_mov_b32_e32 v12, 0
	ds_read_b64 v[2:3], v12 offset:9416
	v_mov_b64_e32 v[8:9], 0
	s_waitcnt lgkmcnt(1)
	v_add_f64 v[10:11], v[4:5], v[6:7]
	v_add_f64 v[0:1], v[4:5], -v[6:7]
	ds_write_b64 v109, v[10:11]
	s_waitcnt lgkmcnt(1)
	v_xor_b32_e32 v3, 0x80000000, v3
	ds_write_b64 v12, v[2:3] offset:9416
	v_mov_b64_e32 v[2:3], v[8:9]
.LBB0_27:
	s_or_b64 exec, exec, s[2:3]
	v_mov_b32_e32 v107, 0
	s_waitcnt lgkmcnt(0)
	v_lshl_add_u64 v[4:5], v[106:107], 4, s[8:9]
	global_load_dwordx4 v[18:21], v[4:5], off
	v_mov_b32_e32 v125, v107
	v_lshl_add_u64 v[4:5], v[124:125], 4, s[8:9]
	global_load_dwordx4 v[22:25], v[4:5], off
	v_mov_b32_e32 v123, v107
	;; [unrolled: 3-line block ×3, first 2 shown]
	ds_write_b64 v109, v[8:9] offset:8
	ds_write_b128 v16, v[0:3] offset:18816
	v_lshl_add_u64 v[4:5], v[120:121], 4, s[8:9]
	ds_read_b128 v[0:3], v117
	ds_read_b128 v[8:11], v16 offset:17920
	global_load_dwordx4 v[4:7], v[4:5], off
	v_mov_b32_e32 v119, v107
	s_waitcnt lgkmcnt(0)
	v_add_f64 v[26:27], v[0:1], v[8:9]
	v_add_f64 v[0:1], v[0:1], -v[8:9]
	v_add_f64 v[28:29], v[2:3], v[10:11]
	v_add_f64 v[2:3], v[2:3], -v[10:11]
	v_mul_f64 v[10:11], v[0:1], 0.5
	v_mul_f64 v[8:9], v[28:29], 0.5
	;; [unrolled: 1-line block ×3, first 2 shown]
	s_waitcnt vmcnt(3)
	v_mul_f64 v[28:29], v[10:11], v[20:21]
	v_fma_f64 v[2:3], v[8:9], v[20:21], v[0:1]
	v_fma_f64 v[20:21], v[8:9], v[20:21], -v[0:1]
	v_fma_f64 v[0:1], 0.5, v[26:27], v[28:29]
	v_fma_f64 v[26:27], v[26:27], 0.5, -v[28:29]
	v_fma_f64 v[2:3], -v[18:19], v[10:11], v[2:3]
	v_fmac_f64_e32 v[0:1], v[8:9], v[18:19]
	v_fma_f64 v[8:9], -v[8:9], v[18:19], v[26:27]
	v_fma_f64 v[10:11], -v[18:19], v[10:11], v[20:21]
	ds_write_b128 v117, v[0:3]
	ds_write_b128 v16, v[8:11] offset:17920
	v_lshl_add_u64 v[8:9], v[118:119], 4, s[8:9]
	ds_read_b128 v[0:3], v115
	ds_read_b128 v[18:21], v16 offset:17024
	global_load_dwordx4 v[8:11], v[8:9], off
	v_mov_b32_e32 v117, v107
	s_waitcnt lgkmcnt(0)
	v_add_f64 v[26:27], v[0:1], v[18:19]
	v_add_f64 v[0:1], v[0:1], -v[18:19]
	v_add_f64 v[28:29], v[2:3], v[20:21]
	v_add_f64 v[2:3], v[2:3], -v[20:21]
	v_mul_f64 v[20:21], v[0:1], 0.5
	v_mul_f64 v[18:19], v[28:29], 0.5
	v_mul_f64 v[0:1], v[2:3], 0.5
	s_waitcnt vmcnt(3)
	v_mul_f64 v[28:29], v[20:21], v[24:25]
	v_fma_f64 v[2:3], v[18:19], v[24:25], v[0:1]
	v_fma_f64 v[24:25], v[18:19], v[24:25], -v[0:1]
	v_fma_f64 v[0:1], 0.5, v[26:27], v[28:29]
	v_fma_f64 v[2:3], -v[22:23], v[20:21], v[2:3]
	v_fma_f64 v[26:27], v[26:27], 0.5, -v[28:29]
	v_fmac_f64_e32 v[0:1], v[18:19], v[22:23]
	v_fma_f64 v[20:21], -v[22:23], v[20:21], v[24:25]
	v_fma_f64 v[18:19], -v[18:19], v[22:23], v[26:27]
	ds_write_b128 v115, v[0:3]
	ds_write_b128 v16, v[18:21] offset:17024
	v_lshl_add_u64 v[0:1], v[116:117], 4, s[8:9]
	ds_read_b128 v[18:21], v113
	ds_read_b128 v[22:25], v16 offset:16128
	global_load_dwordx4 v[0:3], v[0:1], off
	v_mov_b32_e32 v115, v107
	s_waitcnt lgkmcnt(0)
	v_add_f64 v[26:27], v[18:19], v[22:23]
	v_add_f64 v[18:19], v[18:19], -v[22:23]
	v_add_f64 v[28:29], v[20:21], v[24:25]
	v_add_f64 v[20:21], v[20:21], -v[24:25]
	v_mul_f64 v[24:25], v[18:19], 0.5
	v_mul_f64 v[22:23], v[28:29], 0.5
	v_mul_f64 v[18:19], v[20:21], 0.5
	s_waitcnt vmcnt(3)
	v_mul_f64 v[28:29], v[24:25], v[14:15]
	v_fma_f64 v[20:21], v[22:23], v[14:15], v[18:19]
	v_fma_f64 v[14:15], v[22:23], v[14:15], -v[18:19]
	v_fma_f64 v[18:19], 0.5, v[26:27], v[28:29]
	v_fma_f64 v[20:21], -v[12:13], v[24:25], v[20:21]
	v_fma_f64 v[26:27], v[26:27], 0.5, -v[28:29]
	;; [unrolled: 25-line block ×3, first 2 shown]
	v_fmac_f64_e32 v[12:13], v[18:19], v[4:5]
	v_fma_f64 v[6:7], -v[4:5], v[20:21], v[6:7]
	v_fma_f64 v[4:5], -v[18:19], v[4:5], v[26:27]
	ds_write_b128 v111, v[12:15]
	ds_write_b128 v16, v[4:7] offset:15232
	v_mov_b32_e32 v111, v107
	v_lshl_add_u64 v[18:19], v[110:111], 4, s[8:9]
	ds_read_b128 v[4:7], v131
	ds_read_b128 v[12:15], v16 offset:14336
	global_load_dwordx4 v[18:21], v[18:19], off
	s_waitcnt lgkmcnt(0)
	v_add_f64 v[26:27], v[4:5], v[12:13]
	v_add_f64 v[4:5], v[4:5], -v[12:13]
	v_add_f64 v[28:29], v[6:7], v[14:15]
	v_add_f64 v[6:7], v[6:7], -v[14:15]
	v_mul_f64 v[14:15], v[4:5], 0.5
	v_mul_f64 v[12:13], v[28:29], 0.5
	;; [unrolled: 1-line block ×3, first 2 shown]
	s_waitcnt vmcnt(3)
	v_mul_f64 v[28:29], v[14:15], v[10:11]
	v_fma_f64 v[6:7], v[12:13], v[10:11], v[4:5]
	v_fma_f64 v[10:11], v[12:13], v[10:11], -v[4:5]
	v_fma_f64 v[4:5], 0.5, v[26:27], v[28:29]
	v_fma_f64 v[6:7], -v[8:9], v[14:15], v[6:7]
	v_fma_f64 v[26:27], v[26:27], 0.5, -v[28:29]
	v_fmac_f64_e32 v[4:5], v[12:13], v[8:9]
	v_fma_f64 v[10:11], -v[8:9], v[14:15], v[10:11]
	v_fma_f64 v[8:9], -v[12:13], v[8:9], v[26:27]
	ds_write_b128 v131, v[4:7]
	ds_write_b128 v16, v[8:11] offset:14336
	v_lshl_add_u64 v[12:13], v[112:113], 4, s[8:9]
	ds_read_b128 v[4:7], v130
	ds_read_b128 v[8:11], v16 offset:13440
	global_load_dwordx4 v[12:15], v[12:13], off
	s_waitcnt lgkmcnt(0)
	v_add_f64 v[26:27], v[4:5], v[8:9]
	v_add_f64 v[4:5], v[4:5], -v[8:9]
	v_add_f64 v[28:29], v[6:7], v[10:11]
	v_add_f64 v[6:7], v[6:7], -v[10:11]
	v_mul_f64 v[10:11], v[4:5], 0.5
	v_mul_f64 v[8:9], v[28:29], 0.5
	v_mul_f64 v[28:29], v[6:7], 0.5
	s_waitcnt vmcnt(3)
	v_mul_f64 v[30:31], v[10:11], v[2:3]
	v_fma_f64 v[4:5], 0.5, v[26:27], v[30:31]
	v_fma_f64 v[6:7], v[8:9], v[2:3], v[28:29]
	v_fmac_f64_e32 v[4:5], v[8:9], v[0:1]
	v_fma_f64 v[6:7], -v[0:1], v[10:11], v[6:7]
	ds_write_b128 v130, v[4:7]
	v_fma_f64 v[4:5], v[26:27], 0.5, -v[30:31]
	v_fma_f64 v[2:3], v[8:9], v[2:3], -v[28:29]
	v_fma_f64 v[4:5], -v[8:9], v[0:1], v[4:5]
	v_fma_f64 v[6:7], -v[0:1], v[10:11], v[2:3]
	ds_write_b128 v16, v[4:7] offset:13440
	ds_read_b128 v[0:3], v129
	ds_read_b128 v[4:7], v16 offset:12544
	s_waitcnt lgkmcnt(0)
	v_add_f64 v[8:9], v[0:1], v[4:5]
	v_add_f64 v[0:1], v[0:1], -v[4:5]
	v_add_f64 v[10:11], v[2:3], v[6:7]
	v_add_f64 v[2:3], v[2:3], -v[6:7]
	v_mul_f64 v[4:5], v[0:1], 0.5
	v_mul_f64 v[10:11], v[10:11], 0.5
	v_mul_f64 v[6:7], v[2:3], 0.5
	s_waitcnt vmcnt(2)
	v_mul_f64 v[26:27], v[4:5], v[24:25]
	v_fma_f64 v[0:1], 0.5, v[8:9], v[26:27]
	v_fma_f64 v[2:3], v[10:11], v[24:25], v[6:7]
	v_fmac_f64_e32 v[0:1], v[10:11], v[22:23]
	v_fma_f64 v[2:3], -v[22:23], v[4:5], v[2:3]
	ds_write_b128 v129, v[0:3]
	v_fma_f64 v[0:1], v[8:9], 0.5, -v[26:27]
	v_fma_f64 v[2:3], v[10:11], v[24:25], -v[6:7]
	v_fma_f64 v[0:1], -v[10:11], v[22:23], v[0:1]
	v_fma_f64 v[2:3], -v[22:23], v[4:5], v[2:3]
	ds_write_b128 v16, v[0:3] offset:12544
	ds_read_b128 v[0:3], v128
	ds_read_b128 v[4:7], v16 offset:11648
	;; [unrolled: 22-line block ×3, first 2 shown]
	s_waitcnt lgkmcnt(0)
	v_add_f64 v[8:9], v[0:1], v[4:5]
	v_add_f64 v[0:1], v[0:1], -v[4:5]
	v_add_f64 v[10:11], v[2:3], v[6:7]
	v_add_f64 v[2:3], v[2:3], -v[6:7]
	v_mul_f64 v[4:5], v[0:1], 0.5
	v_mul_f64 v[10:11], v[10:11], 0.5
	;; [unrolled: 1-line block ×3, first 2 shown]
	s_waitcnt vmcnt(0)
	v_mul_f64 v[18:19], v[4:5], v[14:15]
	v_fma_f64 v[0:1], 0.5, v[8:9], v[18:19]
	v_fma_f64 v[2:3], v[10:11], v[14:15], v[6:7]
	v_fmac_f64_e32 v[0:1], v[10:11], v[12:13]
	v_fma_f64 v[2:3], -v[12:13], v[4:5], v[2:3]
	ds_write_b128 v127, v[0:3]
	v_fma_f64 v[0:1], v[8:9], 0.5, -v[18:19]
	v_fma_f64 v[2:3], v[10:11], v[14:15], -v[6:7]
	v_fma_f64 v[0:1], -v[10:11], v[12:13], v[0:1]
	v_fma_f64 v[2:3], -v[12:13], v[4:5], v[2:3]
	ds_write_b128 v16, v[0:3] offset:10752
	s_and_saveexec_b64 s[2:3], vcc
	s_cbranch_execz .LBB0_29
; %bb.28:
	v_mov_b32_e32 v109, v107
	v_lshl_add_u64 v[0:1], v[108:109], 4, s[8:9]
	global_load_dwordx4 v[0:3], v[0:1], off
	ds_read_b128 v[4:7], v126
	ds_read_b128 v[8:11], v16 offset:9856
	s_waitcnt lgkmcnt(0)
	v_add_f64 v[12:13], v[4:5], v[8:9]
	v_add_f64 v[4:5], v[4:5], -v[8:9]
	v_add_f64 v[14:15], v[6:7], v[10:11]
	v_add_f64 v[6:7], v[6:7], -v[10:11]
	v_mul_f64 v[8:9], v[4:5], 0.5
	v_mul_f64 v[10:11], v[14:15], 0.5
	;; [unrolled: 1-line block ×3, first 2 shown]
	s_waitcnt vmcnt(0)
	v_mul_f64 v[6:7], v[8:9], v[2:3]
	v_fma_f64 v[14:15], v[10:11], v[2:3], v[4:5]
	v_fma_f64 v[18:19], v[10:11], v[2:3], -v[4:5]
	v_fma_f64 v[2:3], 0.5, v[12:13], v[6:7]
	v_fma_f64 v[4:5], -v[0:1], v[8:9], v[14:15]
	v_fma_f64 v[6:7], v[12:13], 0.5, -v[6:7]
	v_fmac_f64_e32 v[2:3], v[10:11], v[0:1]
	v_fma_f64 v[8:9], -v[0:1], v[8:9], v[18:19]
	v_fma_f64 v[6:7], -v[10:11], v[0:1], v[6:7]
	ds_write_b128 v126, v[2:5]
	ds_write_b128 v16, v[6:9] offset:9856
.LBB0_29:
	s_or_b64 exec, exec, s[2:3]
	s_waitcnt lgkmcnt(0)
	; wave barrier
	s_waitcnt lgkmcnt(0)
	s_and_saveexec_b64 s[2:3], s[0:1]
	s_cbranch_execz .LBB0_32
; %bb.30:
	v_mul_lo_u32 v2, s5, v104
	v_mul_lo_u32 v3, s4, v105
	v_mad_u64_u32 v[0:1], s[0:1], s4, v104, 0
	v_lshl_add_u32 v12, v102, 4, 0
	v_add3_u32 v1, v1, v3, v2
	ds_read_b128 v[2:5], v12
	ds_read_b128 v[6:9], v12 offset:896
	v_lshl_add_u64 v[0:1], v[0:1], 4, s[6:7]
	v_mov_b32_e32 v103, 0
	v_lshl_add_u64 v[0:1], v[100:101], 4, v[0:1]
	v_lshl_add_u64 v[10:11], v[102:103], 4, v[0:1]
	s_waitcnt lgkmcnt(1)
	global_store_dwordx4 v[10:11], v[2:5], off
	v_cmp_eq_u32_e32 vcc, 55, v102
	s_nop 0
	v_add_u32_e32 v2, 56, v102
	v_mov_b32_e32 v3, v103
	v_lshl_add_u64 v[2:3], v[2:3], 4, v[0:1]
	s_waitcnt lgkmcnt(0)
	global_store_dwordx4 v[2:3], v[6:9], off
	ds_read_b128 v[2:5], v12 offset:1792
	s_nop 0
	v_add_u32_e32 v6, 0x70, v102
	v_mov_b32_e32 v7, v103
	v_lshl_add_u64 v[10:11], v[6:7], 4, v[0:1]
	ds_read_b128 v[6:9], v12 offset:2688
	s_waitcnt lgkmcnt(1)
	global_store_dwordx4 v[10:11], v[2:5], off
	s_nop 1
	v_add_u32_e32 v2, 0xa8, v102
	v_mov_b32_e32 v3, v103
	v_lshl_add_u64 v[2:3], v[2:3], 4, v[0:1]
	s_waitcnt lgkmcnt(0)
	global_store_dwordx4 v[2:3], v[6:9], off
	ds_read_b128 v[2:5], v12 offset:3584
	s_nop 0
	v_add_u32_e32 v6, 0xe0, v102
	v_mov_b32_e32 v7, v103
	v_lshl_add_u64 v[10:11], v[6:7], 4, v[0:1]
	ds_read_b128 v[6:9], v12 offset:4480
	s_waitcnt lgkmcnt(1)
	global_store_dwordx4 v[10:11], v[2:5], off
	;; [unrolled: 14-line block ×9, first 2 shown]
	s_nop 1
	v_add_u32_e32 v2, 0x428, v102
	v_mov_b32_e32 v3, v103
	v_lshl_add_u64 v[10:11], v[2:3], 4, v[0:1]
	ds_read_b128 v[2:5], v12 offset:17920
	s_waitcnt lgkmcnt(1)
	global_store_dwordx4 v[10:11], v[6:9], off
	s_nop 1
	v_add_u32_e32 v6, 0x460, v102
	v_mov_b32_e32 v7, v103
	v_lshl_add_u64 v[6:7], v[6:7], 4, v[0:1]
	s_waitcnt lgkmcnt(0)
	global_store_dwordx4 v[6:7], v[2:5], off
	s_and_b64 exec, exec, vcc
	s_cbranch_execz .LBB0_32
; %bb.31:
	ds_read_b128 v[2:5], v103 offset:18816
	v_add_co_u32_e32 v0, vcc, 0x4000, v0
	s_nop 1
	v_addc_co_u32_e32 v1, vcc, 0, v1, vcc
	s_waitcnt lgkmcnt(0)
	global_store_dwordx4 v[0:1], v[2:5], off offset:2432
.LBB0_32:
	s_endpgm
	.section	.rodata,"a",@progbits
	.p2align	6, 0x0
	.amdhsa_kernel fft_rtc_back_len1176_factors_2_2_2_3_7_7_wgs_56_tpt_56_halfLds_dp_op_CI_CI_unitstride_sbrr_R2C_dirReg
		.amdhsa_group_segment_fixed_size 0
		.amdhsa_private_segment_fixed_size 0
		.amdhsa_kernarg_size 104
		.amdhsa_user_sgpr_count 2
		.amdhsa_user_sgpr_dispatch_ptr 0
		.amdhsa_user_sgpr_queue_ptr 0
		.amdhsa_user_sgpr_kernarg_segment_ptr 1
		.amdhsa_user_sgpr_dispatch_id 0
		.amdhsa_user_sgpr_kernarg_preload_length 0
		.amdhsa_user_sgpr_kernarg_preload_offset 0
		.amdhsa_user_sgpr_private_segment_size 0
		.amdhsa_uses_dynamic_stack 0
		.amdhsa_enable_private_segment 0
		.amdhsa_system_sgpr_workgroup_id_x 1
		.amdhsa_system_sgpr_workgroup_id_y 0
		.amdhsa_system_sgpr_workgroup_id_z 0
		.amdhsa_system_sgpr_workgroup_info 0
		.amdhsa_system_vgpr_workitem_id 0
		.amdhsa_next_free_vgpr 180
		.amdhsa_next_free_sgpr 28
		.amdhsa_accum_offset 180
		.amdhsa_reserve_vcc 1
		.amdhsa_float_round_mode_32 0
		.amdhsa_float_round_mode_16_64 0
		.amdhsa_float_denorm_mode_32 3
		.amdhsa_float_denorm_mode_16_64 3
		.amdhsa_dx10_clamp 1
		.amdhsa_ieee_mode 1
		.amdhsa_fp16_overflow 0
		.amdhsa_tg_split 0
		.amdhsa_exception_fp_ieee_invalid_op 0
		.amdhsa_exception_fp_denorm_src 0
		.amdhsa_exception_fp_ieee_div_zero 0
		.amdhsa_exception_fp_ieee_overflow 0
		.amdhsa_exception_fp_ieee_underflow 0
		.amdhsa_exception_fp_ieee_inexact 0
		.amdhsa_exception_int_div_zero 0
	.end_amdhsa_kernel
	.text
.Lfunc_end0:
	.size	fft_rtc_back_len1176_factors_2_2_2_3_7_7_wgs_56_tpt_56_halfLds_dp_op_CI_CI_unitstride_sbrr_R2C_dirReg, .Lfunc_end0-fft_rtc_back_len1176_factors_2_2_2_3_7_7_wgs_56_tpt_56_halfLds_dp_op_CI_CI_unitstride_sbrr_R2C_dirReg
                                        ; -- End function
	.section	.AMDGPU.csdata,"",@progbits
; Kernel info:
; codeLenInByte = 16508
; NumSgprs: 34
; NumVgprs: 180
; NumAgprs: 0
; TotalNumVgprs: 180
; ScratchSize: 0
; MemoryBound: 0
; FloatMode: 240
; IeeeMode: 1
; LDSByteSize: 0 bytes/workgroup (compile time only)
; SGPRBlocks: 4
; VGPRBlocks: 22
; NumSGPRsForWavesPerEU: 34
; NumVGPRsForWavesPerEU: 180
; AccumOffset: 180
; Occupancy: 2
; WaveLimiterHint : 1
; COMPUTE_PGM_RSRC2:SCRATCH_EN: 0
; COMPUTE_PGM_RSRC2:USER_SGPR: 2
; COMPUTE_PGM_RSRC2:TRAP_HANDLER: 0
; COMPUTE_PGM_RSRC2:TGID_X_EN: 1
; COMPUTE_PGM_RSRC2:TGID_Y_EN: 0
; COMPUTE_PGM_RSRC2:TGID_Z_EN: 0
; COMPUTE_PGM_RSRC2:TIDIG_COMP_CNT: 0
; COMPUTE_PGM_RSRC3_GFX90A:ACCUM_OFFSET: 44
; COMPUTE_PGM_RSRC3_GFX90A:TG_SPLIT: 0
	.text
	.p2alignl 6, 3212836864
	.fill 256, 4, 3212836864
	.type	__hip_cuid_dbfd543624ec2785,@object ; @__hip_cuid_dbfd543624ec2785
	.section	.bss,"aw",@nobits
	.globl	__hip_cuid_dbfd543624ec2785
__hip_cuid_dbfd543624ec2785:
	.byte	0                               ; 0x0
	.size	__hip_cuid_dbfd543624ec2785, 1

	.ident	"AMD clang version 19.0.0git (https://github.com/RadeonOpenCompute/llvm-project roc-6.4.0 25133 c7fe45cf4b819c5991fe208aaa96edf142730f1d)"
	.section	".note.GNU-stack","",@progbits
	.addrsig
	.addrsig_sym __hip_cuid_dbfd543624ec2785
	.amdgpu_metadata
---
amdhsa.kernels:
  - .agpr_count:     0
    .args:
      - .actual_access:  read_only
        .address_space:  global
        .offset:         0
        .size:           8
        .value_kind:     global_buffer
      - .offset:         8
        .size:           8
        .value_kind:     by_value
      - .actual_access:  read_only
        .address_space:  global
        .offset:         16
        .size:           8
        .value_kind:     global_buffer
      - .actual_access:  read_only
        .address_space:  global
        .offset:         24
        .size:           8
        .value_kind:     global_buffer
      - .actual_access:  read_only
        .address_space:  global
        .offset:         32
        .size:           8
        .value_kind:     global_buffer
      - .offset:         40
        .size:           8
        .value_kind:     by_value
      - .actual_access:  read_only
        .address_space:  global
        .offset:         48
        .size:           8
        .value_kind:     global_buffer
      - .actual_access:  read_only
        .address_space:  global
        .offset:         56
        .size:           8
        .value_kind:     global_buffer
      - .offset:         64
        .size:           4
        .value_kind:     by_value
      - .actual_access:  read_only
        .address_space:  global
        .offset:         72
        .size:           8
        .value_kind:     global_buffer
      - .actual_access:  read_only
        .address_space:  global
        .offset:         80
        .size:           8
        .value_kind:     global_buffer
      - .actual_access:  read_only
        .address_space:  global
        .offset:         88
        .size:           8
        .value_kind:     global_buffer
      - .actual_access:  write_only
        .address_space:  global
        .offset:         96
        .size:           8
        .value_kind:     global_buffer
    .group_segment_fixed_size: 0
    .kernarg_segment_align: 8
    .kernarg_segment_size: 104
    .language:       OpenCL C
    .language_version:
      - 2
      - 0
    .max_flat_workgroup_size: 56
    .name:           fft_rtc_back_len1176_factors_2_2_2_3_7_7_wgs_56_tpt_56_halfLds_dp_op_CI_CI_unitstride_sbrr_R2C_dirReg
    .private_segment_fixed_size: 0
    .sgpr_count:     34
    .sgpr_spill_count: 0
    .symbol:         fft_rtc_back_len1176_factors_2_2_2_3_7_7_wgs_56_tpt_56_halfLds_dp_op_CI_CI_unitstride_sbrr_R2C_dirReg.kd
    .uniform_work_group_size: 1
    .uses_dynamic_stack: false
    .vgpr_count:     180
    .vgpr_spill_count: 0
    .wavefront_size: 64
amdhsa.target:   amdgcn-amd-amdhsa--gfx950
amdhsa.version:
  - 1
  - 2
...

	.end_amdgpu_metadata
